;; amdgpu-corpus repo=ROCm/rocFFT kind=compiled arch=gfx1201 opt=O3
	.text
	.amdgcn_target "amdgcn-amd-amdhsa--gfx1201"
	.amdhsa_code_object_version 6
	.protected	fft_rtc_back_len3600_factors_10_10_6_6_wgs_120_tpt_120_halfLds_sp_op_CI_CI_unitstride_sbrr_dirReg ; -- Begin function fft_rtc_back_len3600_factors_10_10_6_6_wgs_120_tpt_120_halfLds_sp_op_CI_CI_unitstride_sbrr_dirReg
	.globl	fft_rtc_back_len3600_factors_10_10_6_6_wgs_120_tpt_120_halfLds_sp_op_CI_CI_unitstride_sbrr_dirReg
	.p2align	8
	.type	fft_rtc_back_len3600_factors_10_10_6_6_wgs_120_tpt_120_halfLds_sp_op_CI_CI_unitstride_sbrr_dirReg,@function
fft_rtc_back_len3600_factors_10_10_6_6_wgs_120_tpt_120_halfLds_sp_op_CI_CI_unitstride_sbrr_dirReg: ; @fft_rtc_back_len3600_factors_10_10_6_6_wgs_120_tpt_120_halfLds_sp_op_CI_CI_unitstride_sbrr_dirReg
; %bb.0:
	s_clause 0x2
	s_load_b128 s[8:11], s[0:1], 0x0
	s_load_b128 s[4:7], s[0:1], 0x58
	;; [unrolled: 1-line block ×3, first 2 shown]
	v_mul_u32_u24_e32 v1, 0x223, v0
	v_mov_b32_e32 v5, 0
	v_mov_b32_e32 v31, 0
	;; [unrolled: 1-line block ×3, first 2 shown]
	s_delay_alu instid0(VALU_DEP_4) | instskip(NEXT) | instid1(VALU_DEP_1)
	v_lshrrev_b32_e32 v1, 16, v1
	v_dual_mov_b32 v8, v5 :: v_dual_add_nc_u32 v7, ttmp9, v1
	s_wait_kmcnt 0x0
	v_cmp_lt_u64_e64 s2, s[10:11], 2
	s_delay_alu instid0(VALU_DEP_1)
	s_and_b32 vcc_lo, exec_lo, s2
	s_cbranch_vccnz .LBB0_8
; %bb.1:
	s_load_b64 s[2:3], s[0:1], 0x10
	v_mov_b32_e32 v31, 0
	v_mov_b32_e32 v32, 0
	s_delay_alu instid0(VALU_DEP_2)
	v_mov_b32_e32 v1, v31
	s_add_nc_u64 s[16:17], s[14:15], 8
	s_add_nc_u64 s[18:19], s[12:13], 8
	s_mov_b64 s[20:21], 1
	v_mov_b32_e32 v2, v32
	s_wait_kmcnt 0x0
	s_add_nc_u64 s[22:23], s[2:3], 8
	s_mov_b32 s3, 0
.LBB0_2:                                ; =>This Inner Loop Header: Depth=1
	s_load_b64 s[24:25], s[22:23], 0x0
                                        ; implicit-def: $vgpr3_vgpr4
	s_mov_b32 s2, exec_lo
	s_wait_kmcnt 0x0
	v_or_b32_e32 v6, s25, v8
	s_delay_alu instid0(VALU_DEP_1)
	v_cmpx_ne_u64_e32 0, v[5:6]
	s_wait_alu 0xfffe
	s_xor_b32 s26, exec_lo, s2
	s_cbranch_execz .LBB0_4
; %bb.3:                                ;   in Loop: Header=BB0_2 Depth=1
	s_cvt_f32_u32 s2, s24
	s_cvt_f32_u32 s27, s25
	s_sub_nc_u64 s[30:31], 0, s[24:25]
	s_wait_alu 0xfffe
	s_delay_alu instid0(SALU_CYCLE_1) | instskip(SKIP_1) | instid1(SALU_CYCLE_2)
	s_fmamk_f32 s2, s27, 0x4f800000, s2
	s_wait_alu 0xfffe
	v_s_rcp_f32 s2, s2
	s_delay_alu instid0(TRANS32_DEP_1) | instskip(SKIP_1) | instid1(SALU_CYCLE_2)
	s_mul_f32 s2, s2, 0x5f7ffffc
	s_wait_alu 0xfffe
	s_mul_f32 s27, s2, 0x2f800000
	s_wait_alu 0xfffe
	s_delay_alu instid0(SALU_CYCLE_2) | instskip(SKIP_1) | instid1(SALU_CYCLE_2)
	s_trunc_f32 s27, s27
	s_wait_alu 0xfffe
	s_fmamk_f32 s2, s27, 0xcf800000, s2
	s_cvt_u32_f32 s29, s27
	s_wait_alu 0xfffe
	s_delay_alu instid0(SALU_CYCLE_1) | instskip(SKIP_1) | instid1(SALU_CYCLE_2)
	s_cvt_u32_f32 s28, s2
	s_wait_alu 0xfffe
	s_mul_u64 s[34:35], s[30:31], s[28:29]
	s_wait_alu 0xfffe
	s_mul_hi_u32 s37, s28, s35
	s_mul_i32 s36, s28, s35
	s_mul_hi_u32 s2, s28, s34
	s_mul_i32 s33, s29, s34
	s_wait_alu 0xfffe
	s_add_nc_u64 s[36:37], s[2:3], s[36:37]
	s_mul_hi_u32 s27, s29, s34
	s_mul_hi_u32 s38, s29, s35
	s_add_co_u32 s2, s36, s33
	s_wait_alu 0xfffe
	s_add_co_ci_u32 s2, s37, s27
	s_mul_i32 s34, s29, s35
	s_add_co_ci_u32 s35, s38, 0
	s_wait_alu 0xfffe
	s_add_nc_u64 s[34:35], s[2:3], s[34:35]
	s_wait_alu 0xfffe
	v_add_co_u32 v3, s2, s28, s34
	s_delay_alu instid0(VALU_DEP_1) | instskip(SKIP_1) | instid1(VALU_DEP_1)
	s_cmp_lg_u32 s2, 0
	s_add_co_ci_u32 s29, s29, s35
	v_readfirstlane_b32 s28, v3
	s_wait_alu 0xfffe
	s_delay_alu instid0(VALU_DEP_1)
	s_mul_u64 s[30:31], s[30:31], s[28:29]
	s_wait_alu 0xfffe
	s_mul_hi_u32 s35, s28, s31
	s_mul_i32 s34, s28, s31
	s_mul_hi_u32 s2, s28, s30
	s_mul_i32 s33, s29, s30
	s_wait_alu 0xfffe
	s_add_nc_u64 s[34:35], s[2:3], s[34:35]
	s_mul_hi_u32 s27, s29, s30
	s_mul_hi_u32 s28, s29, s31
	s_wait_alu 0xfffe
	s_add_co_u32 s2, s34, s33
	s_add_co_ci_u32 s2, s35, s27
	s_mul_i32 s30, s29, s31
	s_add_co_ci_u32 s31, s28, 0
	s_wait_alu 0xfffe
	s_add_nc_u64 s[30:31], s[2:3], s[30:31]
	s_wait_alu 0xfffe
	v_add_co_u32 v6, s2, v3, s30
	s_delay_alu instid0(VALU_DEP_1) | instskip(SKIP_1) | instid1(VALU_DEP_1)
	s_cmp_lg_u32 s2, 0
	s_add_co_ci_u32 s2, s29, s31
	v_mul_hi_u32 v13, v7, v6
	s_wait_alu 0xfffe
	v_mad_co_u64_u32 v[3:4], null, v7, s2, 0
	v_mad_co_u64_u32 v[9:10], null, v8, v6, 0
	;; [unrolled: 1-line block ×3, first 2 shown]
	s_delay_alu instid0(VALU_DEP_3) | instskip(SKIP_1) | instid1(VALU_DEP_4)
	v_add_co_u32 v3, vcc_lo, v13, v3
	s_wait_alu 0xfffd
	v_add_co_ci_u32_e32 v4, vcc_lo, 0, v4, vcc_lo
	s_delay_alu instid0(VALU_DEP_2) | instskip(SKIP_1) | instid1(VALU_DEP_2)
	v_add_co_u32 v3, vcc_lo, v3, v9
	s_wait_alu 0xfffd
	v_add_co_ci_u32_e32 v3, vcc_lo, v4, v10, vcc_lo
	s_wait_alu 0xfffd
	v_add_co_ci_u32_e32 v4, vcc_lo, 0, v12, vcc_lo
	s_delay_alu instid0(VALU_DEP_2) | instskip(SKIP_1) | instid1(VALU_DEP_2)
	v_add_co_u32 v6, vcc_lo, v3, v11
	s_wait_alu 0xfffd
	v_add_co_ci_u32_e32 v9, vcc_lo, 0, v4, vcc_lo
	s_delay_alu instid0(VALU_DEP_2) | instskip(SKIP_1) | instid1(VALU_DEP_3)
	v_mul_lo_u32 v10, s25, v6
	v_mad_co_u64_u32 v[3:4], null, s24, v6, 0
	v_mul_lo_u32 v11, s24, v9
	s_delay_alu instid0(VALU_DEP_2) | instskip(NEXT) | instid1(VALU_DEP_2)
	v_sub_co_u32 v3, vcc_lo, v7, v3
	v_add3_u32 v4, v4, v11, v10
	s_delay_alu instid0(VALU_DEP_1) | instskip(SKIP_1) | instid1(VALU_DEP_1)
	v_sub_nc_u32_e32 v10, v8, v4
	s_wait_alu 0xfffd
	v_subrev_co_ci_u32_e64 v10, s2, s25, v10, vcc_lo
	v_add_co_u32 v11, s2, v6, 2
	s_wait_alu 0xf1ff
	v_add_co_ci_u32_e64 v12, s2, 0, v9, s2
	v_sub_co_u32 v13, s2, v3, s24
	v_sub_co_ci_u32_e32 v4, vcc_lo, v8, v4, vcc_lo
	s_wait_alu 0xf1ff
	v_subrev_co_ci_u32_e64 v10, s2, 0, v10, s2
	s_delay_alu instid0(VALU_DEP_3) | instskip(NEXT) | instid1(VALU_DEP_3)
	v_cmp_le_u32_e32 vcc_lo, s24, v13
	v_cmp_eq_u32_e64 s2, s25, v4
	s_wait_alu 0xfffd
	v_cndmask_b32_e64 v13, 0, -1, vcc_lo
	v_cmp_le_u32_e32 vcc_lo, s25, v10
	s_wait_alu 0xfffd
	v_cndmask_b32_e64 v14, 0, -1, vcc_lo
	v_cmp_le_u32_e32 vcc_lo, s24, v3
	;; [unrolled: 3-line block ×3, first 2 shown]
	s_wait_alu 0xfffd
	v_cndmask_b32_e64 v15, 0, -1, vcc_lo
	v_cmp_eq_u32_e32 vcc_lo, s25, v10
	s_wait_alu 0xf1ff
	s_delay_alu instid0(VALU_DEP_2)
	v_cndmask_b32_e64 v3, v15, v3, s2
	s_wait_alu 0xfffd
	v_cndmask_b32_e32 v10, v14, v13, vcc_lo
	v_add_co_u32 v13, vcc_lo, v6, 1
	s_wait_alu 0xfffd
	v_add_co_ci_u32_e32 v14, vcc_lo, 0, v9, vcc_lo
	s_delay_alu instid0(VALU_DEP_3) | instskip(SKIP_1) | instid1(VALU_DEP_2)
	v_cmp_ne_u32_e32 vcc_lo, 0, v10
	s_wait_alu 0xfffd
	v_cndmask_b32_e32 v4, v14, v12, vcc_lo
	v_cndmask_b32_e32 v10, v13, v11, vcc_lo
	v_cmp_ne_u32_e32 vcc_lo, 0, v3
	s_wait_alu 0xfffd
	s_delay_alu instid0(VALU_DEP_2)
	v_dual_cndmask_b32 v4, v9, v4 :: v_dual_cndmask_b32 v3, v6, v10
.LBB0_4:                                ;   in Loop: Header=BB0_2 Depth=1
	s_wait_alu 0xfffe
	s_and_not1_saveexec_b32 s2, s26
	s_cbranch_execz .LBB0_6
; %bb.5:                                ;   in Loop: Header=BB0_2 Depth=1
	v_cvt_f32_u32_e32 v3, s24
	s_sub_co_i32 s26, 0, s24
	s_delay_alu instid0(VALU_DEP_1) | instskip(NEXT) | instid1(TRANS32_DEP_1)
	v_rcp_iflag_f32_e32 v3, v3
	v_mul_f32_e32 v3, 0x4f7ffffe, v3
	s_delay_alu instid0(VALU_DEP_1) | instskip(SKIP_1) | instid1(VALU_DEP_1)
	v_cvt_u32_f32_e32 v3, v3
	s_wait_alu 0xfffe
	v_mul_lo_u32 v4, s26, v3
	s_delay_alu instid0(VALU_DEP_1) | instskip(NEXT) | instid1(VALU_DEP_1)
	v_mul_hi_u32 v4, v3, v4
	v_add_nc_u32_e32 v3, v3, v4
	s_delay_alu instid0(VALU_DEP_1) | instskip(NEXT) | instid1(VALU_DEP_1)
	v_mul_hi_u32 v3, v7, v3
	v_mul_lo_u32 v4, v3, s24
	v_add_nc_u32_e32 v6, 1, v3
	s_delay_alu instid0(VALU_DEP_2) | instskip(NEXT) | instid1(VALU_DEP_1)
	v_sub_nc_u32_e32 v4, v7, v4
	v_subrev_nc_u32_e32 v9, s24, v4
	v_cmp_le_u32_e32 vcc_lo, s24, v4
	s_wait_alu 0xfffd
	s_delay_alu instid0(VALU_DEP_2) | instskip(NEXT) | instid1(VALU_DEP_1)
	v_dual_cndmask_b32 v4, v4, v9 :: v_dual_cndmask_b32 v3, v3, v6
	v_cmp_le_u32_e32 vcc_lo, s24, v4
	v_mov_b32_e32 v4, v5
	s_delay_alu instid0(VALU_DEP_3) | instskip(SKIP_1) | instid1(VALU_DEP_1)
	v_add_nc_u32_e32 v6, 1, v3
	s_wait_alu 0xfffd
	v_cndmask_b32_e32 v3, v3, v6, vcc_lo
.LBB0_6:                                ;   in Loop: Header=BB0_2 Depth=1
	s_wait_alu 0xfffe
	s_or_b32 exec_lo, exec_lo, s2
	v_mul_lo_u32 v6, v4, s24
	s_delay_alu instid0(VALU_DEP_2)
	v_mul_lo_u32 v11, v3, s25
	s_load_b64 s[26:27], s[18:19], 0x0
	v_mad_co_u64_u32 v[9:10], null, v3, s24, 0
	s_load_b64 s[24:25], s[16:17], 0x0
	s_add_nc_u64 s[20:21], s[20:21], 1
	s_add_nc_u64 s[16:17], s[16:17], 8
	s_wait_alu 0xfffe
	v_cmp_ge_u64_e64 s2, s[20:21], s[10:11]
	s_add_nc_u64 s[18:19], s[18:19], 8
	s_add_nc_u64 s[22:23], s[22:23], 8
	v_add3_u32 v6, v10, v11, v6
	v_sub_co_u32 v7, vcc_lo, v7, v9
	s_wait_alu 0xfffd
	s_delay_alu instid0(VALU_DEP_2) | instskip(SKIP_2) | instid1(VALU_DEP_1)
	v_sub_co_ci_u32_e32 v6, vcc_lo, v8, v6, vcc_lo
	s_and_b32 vcc_lo, exec_lo, s2
	s_wait_kmcnt 0x0
	v_mul_lo_u32 v8, s26, v6
	v_mul_lo_u32 v9, s27, v7
	v_mad_co_u64_u32 v[31:32], null, s26, v7, v[31:32]
	v_mul_lo_u32 v6, s24, v6
	v_mul_lo_u32 v10, s25, v7
	v_mad_co_u64_u32 v[1:2], null, s24, v7, v[1:2]
	s_delay_alu instid0(VALU_DEP_4) | instskip(NEXT) | instid1(VALU_DEP_2)
	v_add3_u32 v32, v9, v32, v8
	v_add3_u32 v2, v10, v2, v6
	s_wait_alu 0xfffe
	s_cbranch_vccnz .LBB0_9
; %bb.7:                                ;   in Loop: Header=BB0_2 Depth=1
	v_dual_mov_b32 v8, v4 :: v_dual_mov_b32 v7, v3
	s_branch .LBB0_2
.LBB0_8:
	v_dual_mov_b32 v1, v31 :: v_dual_mov_b32 v2, v32
	v_dual_mov_b32 v3, v7 :: v_dual_mov_b32 v4, v8
.LBB0_9:
	s_load_b64 s[0:1], s[0:1], 0x28
	v_mul_hi_u32 v5, 0x2222223, v0
	s_lshl_b64 s[10:11], s[10:11], 3
                                        ; implicit-def: $vgpr67
	s_wait_kmcnt 0x0
	v_cmp_gt_u64_e32 vcc_lo, s[0:1], v[3:4]
	v_cmp_le_u64_e64 s0, s[0:1], v[3:4]
	s_delay_alu instid0(VALU_DEP_1)
	s_and_saveexec_b32 s1, s0
	s_wait_alu 0xfffe
	s_xor_b32 s0, exec_lo, s1
; %bb.10:
	v_mul_u32_u24_e32 v5, 0x78, v5
                                        ; implicit-def: $vgpr31_vgpr32
	s_delay_alu instid0(VALU_DEP_1)
	v_sub_nc_u32_e32 v67, v0, v5
                                        ; implicit-def: $vgpr5
                                        ; implicit-def: $vgpr0
; %bb.11:
	s_wait_alu 0xfffe
	s_or_saveexec_b32 s1, s0
	s_add_nc_u64 s[2:3], s[14:15], s[10:11]
                                        ; implicit-def: $vgpr10
                                        ; implicit-def: $vgpr24
                                        ; implicit-def: $vgpr12
                                        ; implicit-def: $vgpr22
                                        ; implicit-def: $vgpr14
                                        ; implicit-def: $vgpr20
                                        ; implicit-def: $vgpr16
                                        ; implicit-def: $vgpr18
                                        ; implicit-def: $vgpr8
                                        ; implicit-def: $vgpr6
                                        ; implicit-def: $vgpr42
                                        ; implicit-def: $vgpr64
                                        ; implicit-def: $vgpr44
                                        ; implicit-def: $vgpr62
                                        ; implicit-def: $vgpr40
                                        ; implicit-def: $vgpr60
                                        ; implicit-def: $vgpr46
                                        ; implicit-def: $vgpr58
                                        ; implicit-def: $vgpr36
                                        ; implicit-def: $vgpr26
                                        ; implicit-def: $vgpr33
                                        ; implicit-def: $vgpr54
                                        ; implicit-def: $vgpr48
                                        ; implicit-def: $vgpr66
                                        ; implicit-def: $vgpr38
                                        ; implicit-def: $vgpr52
                                        ; implicit-def: $vgpr50
                                        ; implicit-def: $vgpr56
                                        ; implicit-def: $vgpr30
                                        ; implicit-def: $vgpr28
	s_wait_alu 0xfffe
	s_xor_b32 exec_lo, exec_lo, s1
	s_cbranch_execz .LBB0_13
; %bb.12:
	s_add_nc_u64 s[10:11], s[12:13], s[10:11]
	s_load_b64 s[10:11], s[10:11], 0x0
	s_wait_kmcnt 0x0
	v_mul_lo_u32 v8, s11, v3
	v_mul_lo_u32 v9, s10, v4
	v_mad_co_u64_u32 v[6:7], null, s10, v3, 0
	s_delay_alu instid0(VALU_DEP_1) | instskip(SKIP_1) | instid1(VALU_DEP_2)
	v_add3_u32 v7, v7, v9, v8
	v_mul_u32_u24_e32 v9, 0x78, v5
	v_lshlrev_b64_e32 v[5:6], 3, v[6:7]
	v_lshlrev_b64_e32 v[7:8], 3, v[31:32]
	s_delay_alu instid0(VALU_DEP_3) | instskip(NEXT) | instid1(VALU_DEP_3)
	v_sub_nc_u32_e32 v67, v0, v9
	v_add_co_u32 v0, s0, s4, v5
	s_wait_alu 0xf1ff
	s_delay_alu instid0(VALU_DEP_4) | instskip(NEXT) | instid1(VALU_DEP_3)
	v_add_co_ci_u32_e64 v5, s0, s5, v6, s0
	v_lshlrev_b32_e32 v6, 3, v67
	s_delay_alu instid0(VALU_DEP_3) | instskip(SKIP_1) | instid1(VALU_DEP_3)
	v_add_co_u32 v0, s0, v0, v7
	s_wait_alu 0xf1ff
	v_add_co_ci_u32_e64 v5, s0, v5, v8, s0
	s_delay_alu instid0(VALU_DEP_2) | instskip(SKIP_1) | instid1(VALU_DEP_2)
	v_add_co_u32 v9, s0, v0, v6
	s_wait_alu 0xf1ff
	v_add_co_ci_u32_e64 v10, s0, 0, v5, s0
	s_clause 0x1d
	global_load_b64 v[27:28], v[9:10], off
	global_load_b64 v[25:26], v[9:10], off offset:960
	global_load_b64 v[35:36], v[9:10], off offset:3840
	global_load_b64 v[57:58], v[9:10], off offset:6720
	global_load_b64 v[51:52], v[9:10], off offset:11520
	global_load_b64 v[59:60], v[9:10], off offset:12480
	global_load_b64 v[39:40], v[9:10], off offset:15360
	global_load_b64 v[61:62], v[9:10], off offset:18240
	global_load_b64 v[53:54], v[9:10], off offset:23040
	global_load_b64 v[63:64], v[9:10], off offset:24000
	global_load_b64 v[29:30], v[9:10], off offset:2880
	global_load_b64 v[5:6], v[9:10], off offset:1920
	global_load_b64 v[55:56], v[9:10], off offset:5760
	global_load_b64 v[7:8], v[9:10], off offset:4800
	global_load_b64 v[45:46], v[9:10], off offset:9600
	global_load_b64 v[15:16], v[9:10], off offset:10560
	global_load_b64 v[49:50], v[9:10], off offset:8640
	global_load_b64 v[17:18], v[9:10], off offset:7680
	global_load_b64 v[37:38], v[9:10], off offset:14400
	global_load_b64 v[19:20], v[9:10], off offset:13440
	global_load_b64 v[65:66], v[9:10], off offset:17280
	global_load_b64 v[13:14], v[9:10], off offset:16320
	global_load_b64 v[43:44], v[9:10], off offset:21120
	global_load_b64 v[11:12], v[9:10], off offset:22080
	global_load_b64 v[47:48], v[9:10], off offset:20160
	global_load_b64 v[21:22], v[9:10], off offset:19200
	global_load_b64 v[32:33], v[9:10], off offset:25920
	global_load_b64 v[23:24], v[9:10], off offset:24960
	global_load_b64 v[41:42], v[9:10], off offset:26880
	global_load_b64 v[9:10], v[9:10], off offset:27840
.LBB0_13:
	s_or_b32 exec_lo, exec_lo, s1
	s_wait_loadcnt 0x11
	v_dual_add_f32 v31, v55, v27 :: v_dual_sub_f32 v34, v56, v54
	s_wait_loadcnt 0x9
	v_dual_sub_f32 v68, v52, v66 :: v_dual_sub_f32 v69, v55, v51
	s_delay_alu instid0(VALU_DEP_2) | instskip(SKIP_3) | instid1(VALU_DEP_3)
	v_dual_sub_f32 v70, v53, v65 :: v_dual_add_f32 v31, v51, v31
	v_add_f32_e32 v0, v65, v51
	s_load_b64 s[2:3], s[2:3], 0x0
	v_cmp_gt_u32_e64 s0, 0x64, v67
	v_add_f32_e32 v69, v70, v69
	s_delay_alu instid0(VALU_DEP_3) | instskip(NEXT) | instid1(VALU_DEP_1)
	v_fma_f32 v0, -0.5, v0, v27
	v_dual_add_f32 v71, v53, v55 :: v_dual_fmamk_f32 v72, v34, 0xbf737871, v0
	v_sub_f32_e32 v73, v51, v55
	s_delay_alu instid0(VALU_DEP_2) | instskip(SKIP_1) | instid1(VALU_DEP_4)
	v_dual_fmac_f32 v27, -0.5, v71 :: v_dual_fmac_f32 v0, 0x3f737871, v34
	v_sub_f32_e32 v70, v65, v53
	v_dual_fmac_f32 v72, 0xbf167918, v68 :: v_dual_add_f32 v31, v65, v31
	s_delay_alu instid0(VALU_DEP_3) | instskip(NEXT) | instid1(VALU_DEP_3)
	v_fmamk_f32 v71, v68, 0x3f737871, v27
	v_dual_fmac_f32 v27, 0xbf737871, v68 :: v_dual_add_f32 v70, v70, v73
	s_delay_alu instid0(VALU_DEP_3) | instskip(NEXT) | instid1(VALU_DEP_4)
	v_fmac_f32_e32 v72, 0x3e9e377a, v69
	v_dual_add_f32 v74, v53, v31 :: v_dual_add_f32 v31, v56, v28
	v_fmac_f32_e32 v0, 0x3f167918, v68
	v_fmac_f32_e32 v71, 0xbf167918, v34
	v_sub_f32_e32 v53, v55, v53
	v_fmac_f32_e32 v27, 0x3f167918, v34
	v_add_f32_e32 v31, v52, v31
	v_dual_add_f32 v75, v66, v52 :: v_dual_fmac_f32 v0, 0x3e9e377a, v69
	v_add_f32_e32 v34, v54, v56
	s_wait_loadcnt 0x3
	v_sub_f32_e32 v73, v47, v32
	s_delay_alu instid0(VALU_DEP_3) | instskip(NEXT) | instid1(VALU_DEP_3)
	v_fma_f32 v68, -0.5, v75, v28
	v_dual_add_f32 v31, v66, v31 :: v_dual_fmac_f32 v28, -0.5, v34
	s_delay_alu instid0(VALU_DEP_2) | instskip(SKIP_1) | instid1(VALU_DEP_3)
	v_fmamk_f32 v69, v53, 0x3f737871, v68
	v_fmac_f32_e32 v68, 0xbf737871, v53
	v_dual_fmac_f32 v71, 0x3e9e377a, v70 :: v_dual_add_f32 v34, v54, v31
	v_sub_f32_e32 v55, v56, v52
	v_dual_sub_f32 v52, v52, v56 :: v_dual_sub_f32 v51, v51, v65
	v_sub_f32_e32 v65, v54, v66
	v_sub_f32_e32 v54, v66, v54
	v_dual_fmac_f32 v27, 0x3e9e377a, v70 :: v_dual_sub_f32 v56, v32, v47
	v_sub_f32_e32 v70, v37, v49
	s_delay_alu instid0(VALU_DEP_3)
	v_add_f32_e32 v52, v54, v52
	v_add_f32_e32 v54, v47, v37
	v_fmac_f32_e32 v68, 0xbf167918, v51
	v_add_f32_e32 v31, v65, v55
	v_fmamk_f32 v65, v51, 0xbf737871, v28
	v_fmac_f32_e32 v28, 0x3f737871, v51
	v_fmac_f32_e32 v69, 0x3f167918, v51
	s_delay_alu instid0(VALU_DEP_3) | instskip(NEXT) | instid1(VALU_DEP_3)
	v_fmac_f32_e32 v65, 0x3f167918, v53
	v_fmac_f32_e32 v28, 0xbf167918, v53
	v_dual_add_f32 v55, v49, v29 :: v_dual_fmac_f32 v68, 0x3e9e377a, v31
	v_fma_f32 v53, -0.5, v54, v29
	s_delay_alu instid0(VALU_DEP_4) | instskip(NEXT) | instid1(VALU_DEP_3)
	v_dual_fmac_f32 v65, 0x3e9e377a, v52 :: v_dual_sub_f32 v54, v50, v33
	v_add_f32_e32 v51, v37, v55
	v_dual_fmac_f32 v69, 0x3e9e377a, v31 :: v_dual_fmac_f32 v28, 0x3e9e377a, v52
	v_sub_f32_e32 v55, v49, v37
	v_sub_f32_e32 v37, v37, v47
	s_delay_alu instid0(VALU_DEP_4) | instskip(SKIP_3) | instid1(VALU_DEP_4)
	v_add_f32_e32 v31, v47, v51
	v_add_f32_e32 v51, v32, v49
	v_sub_f32_e32 v47, v50, v38
	v_dual_add_f32 v55, v56, v55 :: v_dual_add_f32 v56, v73, v70
	v_dual_add_f32 v52, v32, v31 :: v_dual_sub_f32 v31, v38, v48
	s_delay_alu instid0(VALU_DEP_4) | instskip(SKIP_2) | instid1(VALU_DEP_3)
	v_fmac_f32_e32 v29, -0.5, v51
	v_dual_fmamk_f32 v51, v54, 0xbf737871, v53 :: v_dual_sub_f32 v32, v49, v32
	v_dual_fmac_f32 v53, 0x3f737871, v54 :: v_dual_sub_f32 v70, v48, v33
	v_dual_fmamk_f32 v66, v31, 0x3f737871, v29 :: v_dual_add_f32 v49, v50, v30
	s_delay_alu instid0(VALU_DEP_1) | instskip(NEXT) | instid1(VALU_DEP_1)
	v_fmac_f32_e32 v66, 0xbf167918, v54
	v_fmac_f32_e32 v66, 0x3e9e377a, v56
	;; [unrolled: 1-line block ×3, first 2 shown]
	s_delay_alu instid0(VALU_DEP_1) | instskip(SKIP_3) | instid1(VALU_DEP_2)
	v_fmac_f32_e32 v29, 0x3f167918, v54
	v_dual_add_f32 v54, v33, v50 :: v_dual_fmac_f32 v51, 0xbf167918, v31
	v_dual_sub_f32 v50, v38, v50 :: v_dual_fmac_f32 v53, 0x3f167918, v31
	v_add_f32_e32 v31, v48, v38
	v_dual_fmac_f32 v29, 0x3e9e377a, v56 :: v_dual_add_f32 v50, v70, v50
	s_delay_alu instid0(VALU_DEP_2) | instskip(SKIP_1) | instid1(VALU_DEP_2)
	v_fma_f32 v31, -0.5, v31, v30
	v_fmac_f32_e32 v30, -0.5, v54
	v_fmamk_f32 v54, v32, 0x3f737871, v31
	s_delay_alu instid0(VALU_DEP_2) | instskip(SKIP_2) | instid1(VALU_DEP_3)
	v_fmamk_f32 v56, v37, 0xbf737871, v30
	v_fmac_f32_e32 v30, 0x3f737871, v37
	v_fmac_f32_e32 v31, 0xbf737871, v32
	;; [unrolled: 1-line block ×3, first 2 shown]
	s_delay_alu instid0(VALU_DEP_3) | instskip(SKIP_1) | instid1(VALU_DEP_3)
	v_fmac_f32_e32 v30, 0xbf167918, v32
	v_dual_fmac_f32 v51, 0x3e9e377a, v55 :: v_dual_add_f32 v32, v38, v49
	v_fmac_f32_e32 v56, 0x3e9e377a, v50
	s_delay_alu instid0(VALU_DEP_3)
	v_fmac_f32_e32 v30, 0x3e9e377a, v50
	v_fmac_f32_e32 v54, 0x3f167918, v37
	;; [unrolled: 1-line block ×3, first 2 shown]
	v_sub_f32_e32 v55, v33, v48
	v_add_f32_e32 v32, v48, v32
	v_mul_f32_e32 v70, 0xbf737871, v30
	v_mul_f32_e32 v38, 0xbf737871, v56
	;; [unrolled: 1-line block ×3, first 2 shown]
	s_delay_alu instid0(VALU_DEP_2) | instskip(NEXT) | instid1(VALU_DEP_1)
	v_dual_add_f32 v47, v55, v47 :: v_dual_fmac_f32 v38, 0x3e9e377a, v66
	v_dual_fmac_f32 v54, 0x3e9e377a, v47 :: v_dual_add_f32 v73, v33, v32
	v_fmac_f32_e32 v70, 0xbe9e377a, v29
	v_fmac_f32_e32 v31, 0xbf167918, v37
	s_delay_alu instid0(VALU_DEP_3) | instskip(SKIP_1) | instid1(VALU_DEP_3)
	v_fmac_f32_e32 v76, 0x3f4f1bbd, v54
	v_mul_f32_e32 v37, 0xbf167918, v54
	v_dual_add_f32 v50, v27, v70 :: v_dual_fmac_f32 v31, 0x3e9e377a, v47
	v_dual_add_f32 v47, v52, v74 :: v_dual_sub_f32 v52, v74, v52
	v_add_f32_e32 v49, v71, v38
	v_add_f32_e32 v74, v58, v26
	s_delay_alu instid0(VALU_DEP_4) | instskip(SKIP_1) | instid1(VALU_DEP_1)
	v_mul_f32_e32 v78, 0xbf4f1bbd, v31
	v_mul_f32_e32 v75, 0xbf167918, v31
	v_fmac_f32_e32 v75, 0xbf4f1bbd, v53
	v_mul_f32_e32 v66, 0x3f737871, v66
	s_delay_alu instid0(VALU_DEP_1) | instskip(SKIP_1) | instid1(VALU_DEP_4)
	v_fmac_f32_e32 v66, 0x3e9e377a, v56
	v_sub_f32_e32 v56, v71, v38
	v_dual_mul_f32 v77, 0xbe9e377a, v30 :: v_dual_sub_f32 v54, v0, v75
	v_add_f32_e32 v30, v69, v76
	v_sub_f32_e32 v71, v58, v64
	s_delay_alu instid0(VALU_DEP_3)
	v_fmac_f32_e32 v77, 0x3f737871, v29
	v_add_f32_e32 v29, v73, v34
	v_dual_sub_f32 v38, v65, v66 :: v_dual_fmac_f32 v37, 0x3f4f1bbd, v51
	v_dual_fmac_f32 v78, 0x3f167918, v53 :: v_dual_add_f32 v31, v65, v66
	v_add_f32_e32 v51, v0, v75
	v_add_f32_e32 v32, v28, v77
	s_delay_alu instid0(VALU_DEP_4) | instskip(NEXT) | instid1(VALU_DEP_4)
	v_add_f32_e32 v48, v72, v37
	v_dual_add_f32 v33, v68, v78 :: v_dual_add_f32 v0, v57, v25
	v_sub_f32_e32 v55, v72, v37
	v_dual_add_f32 v37, v61, v59 :: v_dual_sub_f32 v34, v34, v73
	v_sub_f32_e32 v66, v60, v62
	s_delay_alu instid0(VALU_DEP_4) | instskip(SKIP_1) | instid1(VALU_DEP_4)
	v_add_f32_e32 v0, v59, v0
	v_sub_f32_e32 v53, v27, v70
	v_fma_f32 v70, -0.5, v37, v25
	v_dual_sub_f32 v37, v69, v76 :: v_dual_sub_f32 v72, v63, v61
	v_sub_f32_e32 v69, v57, v59
	v_add_f32_e32 v73, v63, v57
	s_delay_alu instid0(VALU_DEP_4) | instskip(SKIP_2) | instid1(VALU_DEP_4)
	v_fmamk_f32 v65, v71, 0xbf737871, v70
	v_fmac_f32_e32 v70, 0x3f737871, v71
	v_dual_add_f32 v0, v61, v0 :: v_dual_sub_f32 v27, v28, v77
	v_dual_fmac_f32 v25, -0.5, v73 :: v_dual_sub_f32 v28, v68, v78
	s_delay_alu instid0(VALU_DEP_3) | instskip(SKIP_1) | instid1(VALU_DEP_3)
	v_fmac_f32_e32 v70, 0x3f167918, v66
	v_fmac_f32_e32 v65, 0xbf167918, v66
	v_dual_add_f32 v69, v72, v69 :: v_dual_fmamk_f32 v68, v66, 0x3f737871, v25
	v_dual_sub_f32 v72, v59, v57 :: v_dual_sub_f32 v73, v61, v63
	v_add_f32_e32 v75, v62, v60
	s_delay_alu instid0(VALU_DEP_3) | instskip(NEXT) | instid1(VALU_DEP_4)
	v_fmac_f32_e32 v65, 0x3e9e377a, v69
	v_fmac_f32_e32 v68, 0xbf167918, v71
	v_dual_sub_f32 v57, v57, v63 :: v_dual_fmac_f32 v70, 0x3e9e377a, v69
	v_add_f32_e32 v69, v64, v58
	v_fmac_f32_e32 v25, 0xbf737871, v66
	v_add_f32_e32 v66, v60, v74
	v_add_f32_e32 v72, v73, v72
	v_fma_f32 v73, -0.5, v75, v26
	v_add_f32_e32 v0, v63, v0
	v_sub_f32_e32 v59, v59, v61
	v_add_f32_e32 v63, v62, v66
	v_dual_sub_f32 v61, v58, v60 :: v_dual_sub_f32 v58, v60, v58
	v_fmamk_f32 v66, v57, 0x3f737871, v73
	v_dual_fmac_f32 v26, -0.5, v69 :: v_dual_fmac_f32 v25, 0x3f167918, v71
	v_dual_fmac_f32 v68, 0x3e9e377a, v72 :: v_dual_sub_f32 v71, v64, v62
	v_dual_sub_f32 v60, v62, v64 :: v_dual_fmac_f32 v73, 0xbf737871, v57
	v_add_f32_e32 v62, v45, v35
	s_delay_alu instid0(VALU_DEP_3) | instskip(NEXT) | instid1(VALU_DEP_3)
	v_dual_fmac_f32 v66, 0x3f167918, v59 :: v_dual_add_f32 v61, v71, v61
	v_dual_fmamk_f32 v69, v59, 0xbf737871, v26 :: v_dual_add_f32 v58, v60, v58
	s_delay_alu instid0(VALU_DEP_4) | instskip(NEXT) | instid1(VALU_DEP_4)
	v_fmac_f32_e32 v73, 0xbf167918, v59
	v_dual_fmac_f32 v26, 0x3f737871, v59 :: v_dual_add_f32 v59, v39, v62
	v_add_f32_e32 v63, v64, v63
	s_delay_alu instid0(VALU_DEP_4) | instskip(NEXT) | instid1(VALU_DEP_3)
	v_dual_fmac_f32 v69, 0x3f167918, v57 :: v_dual_add_f32 v60, v43, v39
	v_dual_fmac_f32 v26, 0xbf167918, v57 :: v_dual_add_f32 v57, v43, v59
	v_dual_fmac_f32 v25, 0x3e9e377a, v72 :: v_dual_fmac_f32 v66, 0x3e9e377a, v61
	s_delay_alu instid0(VALU_DEP_3)
	v_fma_f32 v59, -0.5, v60, v35
	s_wait_loadcnt 0x1
	v_add_f32_e32 v60, v41, v45
	v_add_f32_e32 v62, v41, v57
	v_dual_fmac_f32 v73, 0x3e9e377a, v61 :: v_dual_fmac_f32 v26, 0x3e9e377a, v58
	v_dual_sub_f32 v61, v46, v42 :: v_dual_sub_f32 v64, v41, v43
	v_fmac_f32_e32 v69, 0x3e9e377a, v58
	v_dual_sub_f32 v57, v40, v44 :: v_dual_sub_f32 v72, v39, v45
	v_dual_fmac_f32 v35, -0.5, v60 :: v_dual_sub_f32 v74, v43, v41
	s_delay_alu instid0(VALU_DEP_4) | instskip(SKIP_1) | instid1(VALU_DEP_3)
	v_fmamk_f32 v58, v61, 0xbf737871, v59
	v_dual_sub_f32 v60, v45, v39 :: v_dual_fmac_f32 v59, 0x3f737871, v61
	v_fmamk_f32 v71, v57, 0x3f737871, v35
	s_delay_alu instid0(VALU_DEP_3) | instskip(NEXT) | instid1(VALU_DEP_3)
	v_dual_sub_f32 v39, v39, v43 :: v_dual_fmac_f32 v58, 0xbf167918, v57
	v_dual_add_f32 v60, v64, v60 :: v_dual_fmac_f32 v59, 0x3f167918, v57
	v_fmac_f32_e32 v35, 0xbf737871, v57
	v_add_f32_e32 v57, v44, v40
	s_delay_alu instid0(VALU_DEP_3) | instskip(NEXT) | instid1(VALU_DEP_4)
	v_dual_sub_f32 v41, v45, v41 :: v_dual_fmac_f32 v58, 0x3e9e377a, v60
	v_dual_fmac_f32 v59, 0x3e9e377a, v60 :: v_dual_add_f32 v60, v42, v46
	s_delay_alu instid0(VALU_DEP_3) | instskip(SKIP_2) | instid1(VALU_DEP_4)
	v_fma_f32 v57, -0.5, v57, v36
	v_dual_add_f32 v64, v74, v72 :: v_dual_fmac_f32 v71, 0xbf167918, v61
	v_add_f32_e32 v45, v46, v36
	v_fmac_f32_e32 v36, -0.5, v60
	s_delay_alu instid0(VALU_DEP_4) | instskip(SKIP_3) | instid1(VALU_DEP_4)
	v_fmamk_f32 v60, v41, 0x3f737871, v57
	v_fmac_f32_e32 v35, 0x3f167918, v61
	v_dual_fmac_f32 v71, 0x3e9e377a, v64 :: v_dual_sub_f32 v72, v44, v42
	v_dual_sub_f32 v43, v46, v40 :: v_dual_sub_f32 v46, v40, v46
	v_fmac_f32_e32 v60, 0x3f167918, v39
	s_delay_alu instid0(VALU_DEP_4) | instskip(SKIP_3) | instid1(VALU_DEP_3)
	v_fmac_f32_e32 v35, 0x3e9e377a, v64
	v_fmamk_f32 v64, v39, 0xbf737871, v36
	v_add_f32_e32 v40, v40, v45
	v_add_f32_e32 v46, v72, v46
	v_dual_mul_f32 v77, 0x3f167918, v58 :: v_dual_fmac_f32 v64, 0x3f167918, v41
	v_dual_fmac_f32 v36, 0x3f737871, v39 :: v_dual_sub_f32 v61, v42, v44
	s_delay_alu instid0(VALU_DEP_1) | instskip(NEXT) | instid1(VALU_DEP_3)
	v_dual_fmac_f32 v36, 0xbf167918, v41 :: v_dual_add_f32 v43, v61, v43
	v_fmac_f32_e32 v64, 0x3e9e377a, v46
	v_fmac_f32_e32 v57, 0xbf737871, v41
	s_delay_alu instid0(VALU_DEP_3) | instskip(NEXT) | instid1(VALU_DEP_3)
	v_fmac_f32_e32 v60, 0x3e9e377a, v43
	v_mul_f32_e32 v72, 0xbf737871, v64
	s_delay_alu instid0(VALU_DEP_3) | instskip(SKIP_1) | instid1(VALU_DEP_4)
	v_fmac_f32_e32 v57, 0xbf167918, v39
	v_dual_add_f32 v39, v44, v40 :: v_dual_fmac_f32 v36, 0x3e9e377a, v46
	v_mul_f32_e32 v61, 0xbf167918, v60
	s_delay_alu instid0(VALU_DEP_4) | instskip(NEXT) | instid1(VALU_DEP_3)
	v_fmac_f32_e32 v72, 0x3e9e377a, v71
	v_dual_sub_f32 v44, v0, v62 :: v_dual_add_f32 v75, v42, v39
	s_delay_alu instid0(VALU_DEP_4)
	v_mul_f32_e32 v74, 0xbf737871, v36
	v_dual_add_f32 v39, v62, v0 :: v_dual_add_f32 v0, v21, v19
	v_fmac_f32_e32 v77, 0x3f4f1bbd, v60
	v_fmac_f32_e32 v61, 0x3f4f1bbd, v58
	v_add_f32_e32 v45, v75, v63
	v_dual_fmac_f32 v74, 0xbe9e377a, v35 :: v_dual_add_f32 v41, v68, v72
	s_delay_alu instid0(VALU_DEP_4) | instskip(NEXT) | instid1(VALU_DEP_4)
	v_add_f32_e32 v46, v66, v77
	v_dual_add_f32 v40, v65, v61 :: v_dual_fmac_f32 v57, 0x3e9e377a, v43
	s_delay_alu instid0(VALU_DEP_3) | instskip(SKIP_2) | instid1(VALU_DEP_4)
	v_dual_add_f32 v42, v25, v74 :: v_dual_mul_f32 v71, 0x3f737871, v71
	v_sub_f32_e32 v60, v63, v75
	v_fma_f32 v0, -0.5, v0, v5
	v_mul_f32_e32 v76, 0xbf167918, v57
	v_mul_f32_e32 v79, 0xbf4f1bbd, v57
	v_fmac_f32_e32 v71, 0x3e9e377a, v64
	v_mul_f32_e32 v78, 0xbe9e377a, v36
	v_sub_f32_e32 v36, v68, v72
	v_fmac_f32_e32 v76, 0xbf4f1bbd, v59
	v_fmac_f32_e32 v79, 0x3f167918, v59
	v_add_f32_e32 v57, v69, v71
	v_dual_fmac_f32 v78, 0x3f737871, v35 :: v_dual_sub_f32 v35, v65, v61
	s_delay_alu instid0(VALU_DEP_4)
	v_add_f32_e32 v43, v70, v76
	v_sub_f32_e32 v61, v25, v74
	v_dual_add_f32 v25, v17, v5 :: v_dual_sub_f32 v68, v20, v22
	v_dual_sub_f32 v65, v18, v24 :: v_dual_sub_f32 v64, v69, v71
	v_dual_add_f32 v58, v26, v78 :: v_dual_add_f32 v59, v73, v79
	v_sub_f32_e32 v62, v70, v76
	v_sub_f32_e32 v63, v66, v77
	s_delay_alu instid0(VALU_DEP_4) | instskip(SKIP_2) | instid1(VALU_DEP_3)
	v_dual_add_f32 v66, v19, v25 :: v_dual_fmamk_f32 v71, v65, 0xbf737871, v0
	v_dual_sub_f32 v70, v23, v21 :: v_dual_sub_f32 v69, v17, v19
	v_add_f32_e32 v72, v23, v17
	v_dual_add_f32 v66, v21, v66 :: v_dual_fmac_f32 v71, 0xbf167918, v68
	v_fmac_f32_e32 v0, 0x3f737871, v65
	s_delay_alu instid0(VALU_DEP_4) | instskip(NEXT) | instid1(VALU_DEP_3)
	v_dual_add_f32 v69, v70, v69 :: v_dual_sub_f32 v70, v21, v23
	v_dual_fmac_f32 v5, -0.5, v72 :: v_dual_add_f32 v72, v23, v66
	s_delay_alu instid0(VALU_DEP_2) | instskip(SKIP_2) | instid1(VALU_DEP_4)
	v_dual_add_f32 v74, v18, v6 :: v_dual_fmac_f32 v71, 0x3e9e377a, v69
	v_add_f32_e32 v75, v22, v20
	v_dual_sub_f32 v25, v26, v78 :: v_dual_sub_f32 v26, v73, v79
	v_dual_fmamk_f32 v73, v68, 0x3f737871, v5 :: v_dual_sub_f32 v66, v19, v17
	v_dual_fmac_f32 v0, 0x3f167918, v68 :: v_dual_sub_f32 v17, v17, v23
	v_dual_fmac_f32 v5, 0xbf737871, v68 :: v_dual_add_f32 v68, v20, v74
	v_fma_f32 v75, -0.5, v75, v6
	s_delay_alu instid0(VALU_DEP_4) | instskip(SKIP_1) | instid1(VALU_DEP_3)
	v_dual_fmac_f32 v73, 0xbf167918, v65 :: v_dual_add_f32 v66, v70, v66
	v_sub_f32_e32 v19, v19, v21
	v_dual_add_f32 v23, v22, v68 :: v_dual_fmamk_f32 v74, v17, 0x3f737871, v75
	v_dual_sub_f32 v68, v24, v22 :: v_dual_fmac_f32 v5, 0x3f167918, v65
	v_add_f32_e32 v65, v24, v18
	v_dual_sub_f32 v21, v18, v20 :: v_dual_sub_f32 v18, v20, v18
	s_delay_alu instid0(VALU_DEP_4) | instskip(NEXT) | instid1(VALU_DEP_4)
	v_fmac_f32_e32 v74, 0x3f167918, v19
	v_dual_fmac_f32 v5, 0x3e9e377a, v66 :: v_dual_sub_f32 v20, v22, v24
	s_delay_alu instid0(VALU_DEP_4) | instskip(NEXT) | instid1(VALU_DEP_4)
	v_fmac_f32_e32 v6, -0.5, v65
	v_dual_add_f32 v21, v68, v21 :: v_dual_add_f32 v22, v15, v7
	s_delay_alu instid0(VALU_DEP_3) | instskip(NEXT) | instid1(VALU_DEP_3)
	v_dual_fmac_f32 v75, 0xbf737871, v17 :: v_dual_add_f32 v18, v20, v18
	v_fmamk_f32 v76, v19, 0xbf737871, v6
	v_fmac_f32_e32 v6, 0x3f737871, v19
	s_delay_alu instid0(VALU_DEP_3) | instskip(NEXT) | instid1(VALU_DEP_3)
	v_dual_add_f32 v20, v11, v13 :: v_dual_fmac_f32 v75, 0xbf167918, v19
	v_dual_add_f32 v19, v13, v22 :: v_dual_fmac_f32 v76, 0x3f167918, v17
	v_dual_add_f32 v23, v24, v23 :: v_dual_fmac_f32 v74, 0x3e9e377a, v21
	s_delay_alu instid0(VALU_DEP_3)
	v_fmac_f32_e32 v75, 0x3e9e377a, v21
	s_wait_loadcnt 0x0
	v_sub_f32_e32 v21, v16, v10
	v_fmac_f32_e32 v76, 0x3e9e377a, v18
	v_dual_fmac_f32 v6, 0xbf167918, v17 :: v_dual_add_f32 v17, v11, v19
	v_fma_f32 v19, -0.5, v20, v7
	v_add_f32_e32 v20, v9, v15
	v_sub_f32_e32 v22, v15, v13
	s_delay_alu instid0(VALU_DEP_4) | instskip(SKIP_1) | instid1(VALU_DEP_4)
	v_dual_fmac_f32 v6, 0x3e9e377a, v18 :: v_dual_add_f32 v17, v9, v17
	v_sub_f32_e32 v18, v14, v12
	v_dual_fmac_f32 v7, -0.5, v20 :: v_dual_sub_f32 v24, v9, v11
	v_dual_fmac_f32 v0, 0x3e9e377a, v69 :: v_dual_fmac_f32 v73, 0x3e9e377a, v66
	v_fmamk_f32 v20, v21, 0xbf737871, v19
	s_delay_alu instid0(VALU_DEP_3) | instskip(SKIP_1) | instid1(VALU_DEP_2)
	v_fmamk_f32 v65, v18, 0x3f737871, v7
	v_fmac_f32_e32 v19, 0x3f737871, v21
	v_dual_fmac_f32 v65, 0xbf167918, v21 :: v_dual_sub_f32 v66, v13, v15
	s_delay_alu instid0(VALU_DEP_2) | instskip(SKIP_2) | instid1(VALU_DEP_3)
	v_dual_fmac_f32 v19, 0x3f167918, v18 :: v_dual_sub_f32 v68, v11, v9
	v_fmac_f32_e32 v7, 0xbf737871, v18
	v_dual_add_f32 v22, v24, v22 :: v_dual_sub_f32 v9, v15, v9
	v_dual_sub_f32 v11, v13, v11 :: v_dual_add_f32 v24, v68, v66
	s_delay_alu instid0(VALU_DEP_3) | instskip(SKIP_1) | instid1(VALU_DEP_3)
	v_fmac_f32_e32 v7, 0x3f167918, v21
	v_dual_add_f32 v21, v10, v16 :: v_dual_fmac_f32 v20, 0xbf167918, v18
	v_dual_add_f32 v18, v12, v14 :: v_dual_fmac_f32 v65, 0x3e9e377a, v24
	v_fmac_f32_e32 v19, 0x3e9e377a, v22
	s_delay_alu instid0(VALU_DEP_3) | instskip(NEXT) | instid1(VALU_DEP_3)
	v_dual_add_f32 v15, v16, v8 :: v_dual_fmac_f32 v20, 0x3e9e377a, v22
	v_fma_f32 v18, -0.5, v18, v8
	v_dual_fmac_f32 v8, -0.5, v21 :: v_dual_sub_f32 v13, v16, v14
	v_sub_f32_e32 v22, v10, v12
	v_dual_fmac_f32 v7, 0x3e9e377a, v24 :: v_dual_sub_f32 v66, v12, v10
	s_delay_alu instid0(VALU_DEP_4) | instskip(NEXT) | instid1(VALU_DEP_4)
	v_fmamk_f32 v21, v9, 0x3f737871, v18
	v_fmamk_f32 v24, v11, 0xbf737871, v8
	v_sub_f32_e32 v16, v14, v16
	v_dual_fmac_f32 v8, 0x3f737871, v11 :: v_dual_add_f32 v13, v22, v13
	s_delay_alu instid0(VALU_DEP_4)
	v_fmac_f32_e32 v21, 0x3f167918, v11
	v_fmac_f32_e32 v18, 0xbf737871, v9
	;; [unrolled: 1-line block ×3, first 2 shown]
	v_add_f32_e32 v16, v66, v16
	v_dual_fmac_f32 v8, 0xbf167918, v9 :: v_dual_add_f32 v9, v14, v15
	v_fmac_f32_e32 v21, 0x3e9e377a, v13
	v_fmac_f32_e32 v18, 0xbf167918, v11
	s_delay_alu instid0(VALU_DEP_4) | instskip(SKIP_4) | instid1(VALU_DEP_4)
	v_fmac_f32_e32 v24, 0x3e9e377a, v16
	v_mul_f32_e32 v79, 0x3f737871, v65
	v_add_f32_e32 v9, v12, v9
	v_mul_f32_e32 v15, 0xbf167918, v21
	v_fmac_f32_e32 v18, 0x3e9e377a, v13
	v_dual_sub_f32 v14, v72, v17 :: v_dual_fmac_f32 v79, 0x3e9e377a, v24
	s_delay_alu instid0(VALU_DEP_4) | instskip(NEXT) | instid1(VALU_DEP_3)
	v_add_f32_e32 v77, v10, v9
	v_dual_add_f32 v9, v17, v72 :: v_dual_mul_f32 v78, 0xbf167918, v18
	v_mul_f32_e32 v18, 0xbf4f1bbd, v18
	v_fmac_f32_e32 v15, 0x3f4f1bbd, v20
	v_mul_u32_u24_e32 v17, 10, v67
	v_mul_f32_e32 v20, 0x3f167918, v20
	s_delay_alu instid0(VALU_DEP_4) | instskip(SKIP_1) | instid1(VALU_DEP_2)
	v_fmac_f32_e32 v18, 0x3f167918, v19
	v_fmac_f32_e32 v78, 0xbf4f1bbd, v19
	v_add_f32_e32 v70, v75, v18
	v_dual_sub_f32 v75, v75, v18 :: v_dual_fmac_f32 v8, 0x3e9e377a, v16
	s_delay_alu instid0(VALU_DEP_1) | instskip(SKIP_1) | instid1(VALU_DEP_2)
	v_dual_add_f32 v13, v0, v78 :: v_dual_mul_f32 v22, 0xbf737871, v8
	v_mul_f32_e32 v80, 0xbe9e377a, v8
	v_fmac_f32_e32 v22, 0xbe9e377a, v7
	v_mul_f32_e32 v16, 0xbf737871, v24
	s_delay_alu instid0(VALU_DEP_3) | instskip(NEXT) | instid1(VALU_DEP_3)
	v_fmac_f32_e32 v80, 0x3f737871, v7
	v_add_f32_e32 v12, v5, v22
	s_delay_alu instid0(VALU_DEP_2)
	v_dual_fmac_f32 v16, 0x3e9e377a, v65 :: v_dual_add_f32 v69, v6, v80
	v_add_f32_e32 v10, v71, v15
	v_add_f32_e32 v65, v77, v23
	v_sub_f32_e32 v7, v71, v15
	v_sub_f32_e32 v15, v5, v22
	;; [unrolled: 1-line block ×3, first 2 shown]
	v_lshl_add_u32 v77, v17, 2, 0
	v_add_f32_e32 v11, v73, v16
	v_dual_sub_f32 v8, v73, v16 :: v_dual_sub_f32 v73, v76, v79
	v_fmac_f32_e32 v20, 0x3f4f1bbd, v21
	v_sub_f32_e32 v16, v0, v78
	v_mad_i32_i24 v0, 0xffffffdc, v67, v77
	v_add_f32_e32 v68, v76, v79
	v_add_nc_u32_e32 v76, 0x12c0, v77
	v_add_nc_u32_e32 v78, 0x12d0, v77
	v_dual_add_f32 v66, v74, v20 :: v_dual_add_nc_u32 v79, 0x2580, v77
	v_sub_f32_e32 v72, v74, v20
	v_sub_f32_e32 v74, v6, v80
	v_add_nc_u32_e32 v80, 0x2590, v77
	v_add_nc_u32_e32 v113, 0x1a00, v0
	ds_store_2addr_b64 v77, v[47:48], v[49:50] offset1:1
	ds_store_2addr_b64 v77, v[51:52], v[55:56] offset0:2 offset1:3
	ds_store_2addr_b64 v76, v[39:40], v[41:42] offset1:1
	ds_store_2addr_b64 v78, v[43:44], v[35:36] offset1:1
	;; [unrolled: 1-line block ×4, first 2 shown]
	v_add_nc_u32_e32 v35, 0x200, v0
	v_add_nc_u32_e32 v115, 0x2400, v0
	ds_store_b64 v77, v[53:54] offset:32
	ds_store_b64 v77, v[61:62] offset:4832
	;; [unrolled: 1-line block ×3, first 2 shown]
	global_wb scope:SCOPE_SE
	s_wait_dscnt 0x0
	s_wait_kmcnt 0x0
	s_barrier_signal -1
	s_barrier_wait -1
	global_inv scope:SCOPE_SE
	ds_load_2addr_b32 v[7:8], v0 offset1:120
	ds_load_2addr_b32 v[5:6], v35 offset0:112 offset1:232
	v_add_nc_u32_e32 v110, 0xa00, v0
	v_and_b32_e32 v9, 0xff, v67
	v_add_nc_u32_e32 v111, 0xe00, v0
	v_add_nc_u32_e32 v112, 0x1600, v0
	;; [unrolled: 1-line block ×3, first 2 shown]
	ds_load_2addr_b32 v[23:24], v110 offset0:80 offset1:200
	ds_load_2addr_b32 v[19:20], v111 offset0:64 offset1:184
	;; [unrolled: 1-line block ×5, first 2 shown]
	v_add_nc_u32_e32 v118, 0x3000, v0
	v_mul_lo_u16 v9, 0xcd, v9
	v_add_nc_u32_e32 v120, 0x1200, v0
	v_add_nc_u32_e32 v121, 0x2800, v0
	;; [unrolled: 1-line block ×6, first 2 shown]
	ds_load_2addr_b32 v[92:93], v115 offset0:96 offset1:216
	ds_load_2addr_b32 v[94:95], v116 offset0:64 offset1:184
	;; [unrolled: 1-line block ×4, first 2 shown]
	v_lshrrev_b16 v39, 11, v9
	ds_load_2addr_b32 v[98:99], v120 offset0:48 offset1:168
	ds_load_2addr_b32 v[100:101], v36 offset0:128 offset1:248
	;; [unrolled: 1-line block ×4, first 2 shown]
	global_wb scope:SCOPE_SE
	s_wait_dscnt 0x0
	s_barrier_signal -1
	s_barrier_wait -1
	global_inv scope:SCOPE_SE
	ds_store_2addr_b64 v77, v[29:30], v[31:32] offset1:1
	ds_store_2addr_b64 v77, v[33:34], v[37:38] offset0:2 offset1:3
	v_add_nc_u16 v29, v67, 0x78
	v_mul_lo_u16 v9, v39, 10
	ds_store_2addr_b64 v76, v[45:46], v[57:58] offset1:1
	ds_store_2addr_b64 v78, v[59:60], v[63:64] offset1:1
	;; [unrolled: 1-line block ×4, first 2 shown]
	ds_store_b64 v77, v[27:28] offset:32
	ds_store_b64 v77, v[25:26] offset:4832
	;; [unrolled: 1-line block ×3, first 2 shown]
	v_add_nc_u32_e32 v27, 0xf0, v67
	v_and_b32_e32 v28, 0xff, v29
	v_sub_nc_u16 v9, v67, v9
	global_wb scope:SCOPE_SE
	s_wait_dscnt 0x0
	s_barrier_signal -1
	v_and_b32_e32 v25, 0xffff, v27
	v_mul_lo_u16 v10, 0xcd, v28
	v_and_b32_e32 v30, 0xff, v9
	s_barrier_wait -1
	global_inv scope:SCOPE_SE
	v_lshrrev_b16 v26, 11, v10
	v_mul_u32_u24_e32 v10, 0xcccd, v25
	v_mul_u32_u24_e32 v9, 9, v30
	s_delay_alu instid0(VALU_DEP_3) | instskip(NEXT) | instid1(VALU_DEP_3)
	v_mul_lo_u16 v31, v26, 10
	v_lshrrev_b32_e32 v25, 19, v10
	s_delay_alu instid0(VALU_DEP_3) | instskip(NEXT) | instid1(VALU_DEP_3)
	v_lshlrev_b32_e32 v9, 3, v9
	v_sub_nc_u16 v10, v29, v31
	s_delay_alu instid0(VALU_DEP_3)
	v_mul_lo_u16 v31, v25, 10
	s_clause 0x3
	global_load_b128 v[40:43], v9, s[8:9]
	global_load_b128 v[44:47], v9, s[8:9] offset:16
	global_load_b128 v[48:51], v9, s[8:9] offset:32
	;; [unrolled: 1-line block ×3, first 2 shown]
	v_and_b32_e32 v32, 0xff, v10
	v_sub_nc_u16 v10, v27, v31
	s_delay_alu instid0(VALU_DEP_2) | instskip(NEXT) | instid1(VALU_DEP_2)
	v_mul_u32_u24_e32 v33, 9, v32
	v_and_b32_e32 v31, 0xffff, v10
	s_delay_alu instid0(VALU_DEP_2) | instskip(NEXT) | instid1(VALU_DEP_2)
	v_lshlrev_b32_e32 v10, 3, v33
	v_mul_u32_u24_e32 v33, 9, v31
	global_load_b128 v[56:59], v10, s[8:9]
	v_lshlrev_b32_e32 v33, 3, v33
	s_clause 0x9
	global_load_b128 v[60:63], v33, s[8:9]
	global_load_b128 v[68:71], v10, s[8:9] offset:16
	global_load_b128 v[72:75], v33, s[8:9] offset:16
	;; [unrolled: 1-line block ×3, first 2 shown]
	global_load_b64 v[104:105], v9, s[8:9] offset:64
	global_load_b128 v[80:83], v10, s[8:9] offset:48
	global_load_b128 v[84:87], v33, s[8:9] offset:32
	global_load_b64 v[106:107], v10, s[8:9] offset:64
	global_load_b128 v[88:91], v33, s[8:9] offset:48
	global_load_b64 v[108:109], v33, s[8:9] offset:64
	ds_load_2addr_b32 v[9:10], v35 offset0:112 offset1:232
	ds_load_2addr_b32 v[33:34], v110 offset0:80 offset1:200
	;; [unrolled: 1-line block ×8, first 2 shown]
	s_wait_loadcnt_dscnt 0xe07
	v_mul_f32_e32 v123, v10, v41
	s_wait_dscnt 0x6
	v_dual_mul_f32 v41, v6, v41 :: v_dual_mul_f32 v124, v33, v43
	v_mul_f32_e32 v43, v23, v43
	s_wait_loadcnt_dscnt 0xb01
	v_dual_mul_f32 v128, v115, v53 :: v_dual_fmac_f32 v123, v6, v40
	s_delay_alu instid0(VALU_DEP_3)
	v_fma_f32 v125, v10, v40, -v41
	v_mul_f32_e32 v40, v38, v45
	v_mul_f32_e32 v6, v20, v45
	v_fmac_f32_e32 v124, v23, v42
	v_fma_f32 v33, v33, v42, -v43
	ds_load_2addr_b32 v[42:43], v119 offset0:96 offset1:216
	v_fmac_f32_e32 v40, v20, v44
	v_fma_f32 v44, v38, v44, -v6
	v_mul_f32_e32 v6, v14, v49
	v_dual_mul_f32 v127, v111, v49 :: v_dual_fmac_f32 v128, v93, v52
	s_wait_loadcnt 0x9
	v_mul_f32_e32 v23, v19, v63
	v_mul_f32_e32 v126, v64, v47
	v_fma_f32 v111, v111, v48, -v6
	v_dual_mul_f32 v6, v93, v53 :: v_dual_mul_f32 v93, v34, v59
	v_mul_f32_e32 v119, v112, v51
	v_fma_f32 v23, v37, v62, -v23
	v_fmac_f32_e32 v126, v15, v46
	s_delay_alu instid0(VALU_DEP_4)
	v_fma_f32 v52, v115, v52, -v6
	v_mul_f32_e32 v6, v24, v59
	v_dual_fmac_f32 v93, v24, v58 :: v_dual_mul_f32 v24, v37, v63
	s_wait_loadcnt 0x7
	v_mul_f32_e32 v37, v110, v75
	v_mul_f32_e32 v10, v15, v47
	;; [unrolled: 1-line block ×3, first 2 shown]
	v_fmac_f32_e32 v119, v11, v50
	v_fmac_f32_e32 v127, v14, v48
	;; [unrolled: 1-line block ×3, first 2 shown]
	v_fma_f32 v51, v64, v46, -v10
	ds_load_2addr_b32 v[10:11], v120 offset0:48 offset1:168
	s_wait_dscnt 0x2
	v_mul_f32_e32 v53, v116, v55
	s_wait_dscnt 0x1
	v_dual_mul_f32 v41, v42, v57 :: v_dual_fmac_f32 v24, v19, v62
	ds_load_2addr_b32 v[19:20], v36 offset0:128 offset1:248
	v_mul_f32_e32 v14, v94, v55
	v_fma_f32 v50, v112, v50, -v15
	v_fmac_f32_e32 v53, v94, v54
	v_mul_f32_e32 v15, v97, v61
	v_fma_f32 v94, v34, v58, -v6
	v_fma_f32 v54, v116, v54, -v14
	v_mul_f32_e32 v14, v96, v57
	v_mul_f32_e32 v6, v43, v61
	ds_load_2addr_b32 v[46:47], v121 offset0:80 offset1:200
	ds_load_2addr_b32 v[48:49], v122 offset0:32 offset1:152
	v_mul_f32_e32 v34, v98, v69
	v_fma_f32 v45, v42, v56, -v14
	v_fma_f32 v14, v43, v60, -v15
	ds_load_2addr_b32 v[42:43], v118 offset0:48 offset1:168
	s_wait_dscnt 0x4
	v_dual_fmac_f32 v6, v97, v60 :: v_dual_mul_f32 v61, v10, v69
	v_fma_f32 v60, v10, v68, -v34
	v_mul_f32_e32 v10, v13, v75
	v_mul_f32_e32 v15, v16, v71
	v_dual_fmac_f32 v41, v96, v56 :: v_dual_mul_f32 v96, v65, v71
	v_sub_f32_e32 v58, v124, v126
	s_delay_alu instid0(VALU_DEP_4)
	v_fma_f32 v34, v110, v74, -v10
	s_wait_loadcnt 0x6
	v_mul_f32_e32 v10, v100, v77
	v_fma_f32 v69, v65, v70, -v15
	v_mul_f32_e32 v15, v99, v73
	v_dual_sub_f32 v59, v53, v119 :: v_dual_add_f32 v74, v124, v53
	s_wait_dscnt 0x3
	v_fma_f32 v62, v19, v76, -v10
	s_wait_loadcnt 0x5
	v_mul_f32_e32 v10, v22, v105
	v_fma_f32 v15, v11, v72, -v15
	s_wait_loadcnt_dscnt 0x402
	v_mul_f32_e32 v66, v46, v81
	s_wait_dscnt 0x0
	v_dual_add_f32 v58, v58, v59 :: v_dual_mul_f32 v55, v43, v105
	v_fma_f32 v56, v43, v104, -v10
	v_mul_f32_e32 v10, v102, v81
	s_wait_loadcnt 0x1
	v_dual_mul_f32 v43, v103, v89 :: v_dual_fmac_f32 v96, v16, v70
	v_dual_mul_f32 v16, v11, v73 :: v_dual_mul_f32 v13, v17, v107
	v_mul_f32_e32 v11, v12, v79
	v_fma_f32 v63, v46, v80, -v10
	v_fma_f32 v59, -0.5, v74, v7
	v_add_f32_e32 v46, v126, v119
	v_fmac_f32_e32 v61, v98, v68
	v_fma_f32 v70, v113, v78, -v11
	v_mul_f32_e32 v11, v95, v83
	v_dual_mul_f32 v73, v48, v107 :: v_dual_fmac_f32 v16, v99, v72
	v_fma_f32 v57, -0.5, v46, v7
	v_sub_f32_e32 v46, v33, v54
	v_mul_f32_e32 v68, v113, v79
	v_fma_f32 v72, v117, v82, -v11
	v_mul_f32_e32 v11, v101, v85
	v_mul_f32_e32 v65, v19, v77
	;; [unrolled: 1-line block ×3, first 2 shown]
	v_fmac_f32_e32 v68, v12, v78
	v_fma_f32 v64, v48, v106, -v13
	v_fma_f32 v12, v20, v84, -v11
	v_mul_f32_e32 v20, v47, v89
	v_fma_f32 v13, v47, v88, -v43
	v_mul_f32_e32 v43, v42, v91
	v_dual_mul_f32 v47, v21, v91 :: v_dual_add_f32 v48, v7, v124
	v_fmac_f32_e32 v66, v102, v80
	v_dual_mul_f32 v38, v114, v87 :: v_dual_fmac_f32 v73, v17, v106
	s_wait_loadcnt 0x0
	v_mul_f32_e32 v17, v49, v109
	v_fmac_f32_e32 v43, v21, v90
	v_fma_f32 v21, v42, v90, -v47
	v_dual_add_f32 v42, v48, v126 :: v_dual_fmamk_f32 v47, v46, 0xbf737871, v57
	v_sub_f32_e32 v48, v51, v50
	v_fmac_f32_e32 v57, 0x3f737871, v46
	v_dual_fmac_f32 v38, v92, v86 :: v_dual_fmac_f32 v17, v18, v108
	s_delay_alu instid0(VALU_DEP_4) | instskip(NEXT) | instid1(VALU_DEP_4)
	v_add_f32_e32 v42, v42, v119
	v_dual_mul_f32 v10, v92, v87 :: v_dual_fmac_f32 v47, 0xbf167918, v48
	v_dual_fmamk_f32 v74, v48, 0x3f737871, v59 :: v_dual_sub_f32 v77, v54, v50
	v_fmac_f32_e32 v57, 0x3f167918, v48
	v_dual_fmac_f32 v59, 0xbf737871, v48 :: v_dual_sub_f32 v48, v124, v53
	v_mul_f32_e32 v18, v18, v109
	v_fmac_f32_e32 v55, v22, v104
	v_fmac_f32_e32 v47, 0x3e9e377a, v58
	;; [unrolled: 1-line block ×4, first 2 shown]
	v_fma_f32 v7, v49, v108, -v18
	v_add_f32_e32 v49, v42, v53
	v_fma_f32 v22, v114, v86, -v10
	ds_load_2addr_b32 v[10:11], v0 offset1:120
	v_sub_f32_e32 v18, v126, v124
	v_dual_sub_f32 v42, v119, v53 :: v_dual_sub_f32 v53, v126, v119
	v_fmac_f32_e32 v74, 0xbf167918, v46
	v_fmac_f32_e32 v59, 0x3f167918, v46
	v_add_f32_e32 v46, v33, v54
	s_delay_alu instid0(VALU_DEP_4)
	v_add_f32_e32 v18, v18, v42
	v_dual_fmac_f32 v20, v103, v88 :: v_dual_mul_f32 v71, v117, v83
	v_fmac_f32_e32 v19, v101, v84
	global_wb scope:SCOPE_SE
	s_wait_dscnt 0x0
	v_fmac_f32_e32 v74, 0x3e9e377a, v18
	v_dual_fmac_f32 v59, 0x3e9e377a, v18 :: v_dual_sub_f32 v18, v51, v33
	v_fmac_f32_e32 v71, v95, v82
	s_barrier_signal -1
	s_barrier_wait -1
	global_inv scope:SCOPE_SE
	v_mul_lo_u16 v28, v28, 41
	v_add_f32_e32 v75, v10, v33
	v_fma_f32 v78, -0.5, v46, v10
	v_sub_f32_e32 v46, v44, v56
	v_dual_sub_f32 v58, v33, v51 :: v_dual_sub_f32 v33, v50, v54
	v_lshrrev_b16 v28, 12, v28
	s_delay_alu instid0(VALU_DEP_2) | instskip(SKIP_1) | instid1(VALU_DEP_1)
	v_add_f32_e32 v18, v18, v33
	v_add_f32_e32 v42, v75, v51
	;; [unrolled: 1-line block ×3, first 2 shown]
	s_delay_alu instid0(VALU_DEP_1) | instskip(SKIP_2) | instid1(VALU_DEP_3)
	v_dual_add_f32 v79, v42, v54 :: v_dual_add_f32 v42, v123, v40
	v_add_f32_e32 v76, v51, v50
	v_sub_f32_e32 v54, v128, v55
	v_add_f32_e32 v33, v42, v127
	s_delay_alu instid0(VALU_DEP_3) | instskip(SKIP_3) | instid1(VALU_DEP_3)
	v_fma_f32 v75, -0.5, v76, v10
	v_dual_add_f32 v10, v58, v77 :: v_dual_fmamk_f32 v77, v53, 0xbf737871, v78
	v_fmac_f32_e32 v78, 0x3f737871, v53
	v_add_f32_e32 v42, v127, v128
	v_fmac_f32_e32 v77, 0x3f167918, v48
	s_delay_alu instid0(VALU_DEP_3) | instskip(NEXT) | instid1(VALU_DEP_2)
	v_fmac_f32_e32 v78, 0xbf167918, v48
	v_fmac_f32_e32 v77, 0x3e9e377a, v18
	s_delay_alu instid0(VALU_DEP_2) | instskip(SKIP_2) | instid1(VALU_DEP_2)
	v_fmac_f32_e32 v78, 0x3e9e377a, v18
	v_fmamk_f32 v76, v48, 0x3f737871, v75
	v_dual_fmac_f32 v75, 0xbf737871, v48 :: v_dual_sub_f32 v18, v40, v127
	v_fmac_f32_e32 v76, 0x3f167918, v53
	s_delay_alu instid0(VALU_DEP_2) | instskip(NEXT) | instid1(VALU_DEP_2)
	v_fmac_f32_e32 v75, 0xbf167918, v53
	v_dual_sub_f32 v53, v127, v40 :: v_dual_fmac_f32 v76, 0x3e9e377a, v10
	s_delay_alu instid0(VALU_DEP_2) | instskip(SKIP_2) | instid1(VALU_DEP_3)
	v_dual_fmac_f32 v75, 0x3e9e377a, v10 :: v_dual_add_f32 v10, v33, v128
	v_fma_f32 v33, -0.5, v42, v123
	v_add_f32_e32 v42, v40, v55
	v_add_f32_e32 v48, v10, v55
	s_delay_alu instid0(VALU_DEP_2) | instskip(NEXT) | instid1(VALU_DEP_4)
	v_dual_sub_f32 v10, v111, v52 :: v_dual_fmac_f32 v123, -0.5, v42
	v_fmamk_f32 v50, v46, 0xbf737871, v33
	v_dual_sub_f32 v42, v55, v128 :: v_dual_fmac_f32 v33, 0x3f737871, v46
	s_delay_alu instid0(VALU_DEP_3) | instskip(NEXT) | instid1(VALU_DEP_3)
	v_fmamk_f32 v51, v10, 0x3f737871, v123
	v_fmac_f32_e32 v50, 0xbf167918, v10
	s_delay_alu instid0(VALU_DEP_3) | instskip(NEXT) | instid1(VALU_DEP_4)
	v_add_f32_e32 v18, v18, v42
	v_fmac_f32_e32 v33, 0x3f167918, v10
	v_fmac_f32_e32 v123, 0xbf737871, v10
	;; [unrolled: 1-line block ×3, first 2 shown]
	v_add_f32_e32 v42, v53, v54
	v_fmac_f32_e32 v50, 0x3e9e377a, v18
	v_dual_add_f32 v10, v111, v52 :: v_dual_fmac_f32 v33, 0x3e9e377a, v18
	v_dual_fmac_f32 v123, 0x3f167918, v46 :: v_dual_add_f32 v18, v44, v56
	s_delay_alu instid0(VALU_DEP_4) | instskip(NEXT) | instid1(VALU_DEP_3)
	v_fmac_f32_e32 v51, 0x3e9e377a, v42
	v_fma_f32 v46, -0.5, v10, v125
	v_sub_f32_e32 v10, v40, v55
	v_add_f32_e32 v40, v125, v44
	v_sub_f32_e32 v53, v127, v128
	v_fmac_f32_e32 v125, -0.5, v18
	v_fmac_f32_e32 v123, 0x3e9e377a, v42
	v_fmamk_f32 v54, v10, 0x3f737871, v46
	v_sub_f32_e32 v18, v44, v111
	v_sub_f32_e32 v42, v56, v52
	v_dual_fmac_f32 v46, 0xbf737871, v10 :: v_dual_fmamk_f32 v55, v53, 0xbf737871, v125
	v_sub_f32_e32 v44, v111, v44
	v_fmac_f32_e32 v54, 0x3f167918, v53
	s_delay_alu instid0(VALU_DEP_4) | instskip(NEXT) | instid1(VALU_DEP_4)
	v_add_f32_e32 v18, v18, v42
	v_fmac_f32_e32 v46, 0xbf167918, v53
	v_fmac_f32_e32 v55, 0x3f167918, v10
	;; [unrolled: 1-line block ×3, first 2 shown]
	s_delay_alu instid0(VALU_DEP_4) | instskip(NEXT) | instid1(VALU_DEP_4)
	v_fmac_f32_e32 v54, 0x3e9e377a, v18
	v_fmac_f32_e32 v46, 0x3e9e377a, v18
	s_delay_alu instid0(VALU_DEP_2) | instskip(NEXT) | instid1(VALU_DEP_2)
	v_mul_f32_e32 v83, 0x3f4f1bbd, v54
	v_mul_f32_e32 v86, 0xbf4f1bbd, v46
	;; [unrolled: 1-line block ×3, first 2 shown]
	s_delay_alu instid0(VALU_DEP_2) | instskip(SKIP_1) | instid1(VALU_DEP_2)
	v_fmac_f32_e32 v86, 0x3f167918, v33
	v_sub_f32_e32 v58, v52, v56
	v_dual_fmac_f32 v82, 0xbf4f1bbd, v33 :: v_dual_add_f32 v33, v75, v86
	s_delay_alu instid0(VALU_DEP_2) | instskip(SKIP_1) | instid1(VALU_DEP_3)
	v_add_f32_e32 v42, v44, v58
	v_mul_f32_e32 v58, 0xbf167918, v54
	v_add_f32_e32 v44, v57, v82
	s_delay_alu instid0(VALU_DEP_3) | instskip(NEXT) | instid1(VALU_DEP_1)
	v_dual_fmac_f32 v55, 0x3e9e377a, v42 :: v_dual_sub_f32 v46, v49, v48
	v_mul_f32_e32 v84, 0x3e9e377a, v55
	v_mul_f32_e32 v80, 0xbf737871, v55
	s_delay_alu instid0(VALU_DEP_2) | instskip(NEXT) | instid1(VALU_DEP_1)
	v_fmac_f32_e32 v84, 0x3f737871, v51
	v_dual_fmac_f32 v80, 0x3e9e377a, v51 :: v_dual_sub_f32 v51, v77, v84
	v_fmac_f32_e32 v58, 0x3f4f1bbd, v50
	v_dual_fmac_f32 v83, 0x3f167918, v50 :: v_dual_add_f32 v54, v77, v84
	v_sub_f32_e32 v77, v69, v70
	v_add_f32_e32 v84, v69, v70
	s_delay_alu instid0(VALU_DEP_4) | instskip(SKIP_2) | instid1(VALU_DEP_1)
	v_add_f32_e32 v18, v47, v58
	v_sub_f32_e32 v47, v47, v58
	v_dual_fmac_f32 v125, 0xbf167918, v10 :: v_dual_add_f32 v10, v40, v111
	v_dual_fmac_f32 v125, 0x3e9e377a, v42 :: v_dual_add_f32 v10, v10, v52
	s_delay_alu instid0(VALU_DEP_1) | instskip(NEXT) | instid1(VALU_DEP_2)
	v_mul_f32_e32 v81, 0xbf737871, v125
	v_dual_mul_f32 v85, 0xbe9e377a, v125 :: v_dual_add_f32 v56, v10, v56
	v_add_f32_e32 v10, v49, v48
	v_add_f32_e32 v49, v96, v68
	s_delay_alu instid0(VALU_DEP_4) | instskip(NEXT) | instid1(VALU_DEP_4)
	v_fmac_f32_e32 v81, 0xbe9e377a, v123
	v_dual_fmac_f32 v85, 0x3f737871, v123 :: v_dual_add_f32 v52, v79, v56
	v_dual_add_f32 v53, v76, v83 :: v_dual_add_f32 v40, v74, v80
	s_delay_alu instid0(VALU_DEP_3)
	v_add_f32_e32 v42, v59, v81
	v_dual_sub_f32 v58, v59, v81 :: v_dual_sub_f32 v59, v57, v82
	v_dual_add_f32 v57, v8, v93 :: v_dual_add_f32 v82, v93, v71
	v_add_f32_e32 v55, v78, v85
	v_sub_f32_e32 v48, v74, v80
	v_fma_f32 v74, -0.5, v49, v8
	s_delay_alu instid0(VALU_DEP_4) | instskip(SKIP_3) | instid1(VALU_DEP_4)
	v_add_f32_e32 v57, v57, v96
	v_sub_f32_e32 v49, v79, v56
	v_sub_f32_e32 v79, v93, v96
	v_dual_sub_f32 v81, v71, v68 :: v_dual_sub_f32 v56, v78, v85
	v_add_f32_e32 v78, v57, v68
	v_fmac_f32_e32 v8, -0.5, v82
	s_delay_alu instid0(VALU_DEP_3) | instskip(SKIP_1) | instid1(VALU_DEP_3)
	v_dual_sub_f32 v80, v94, v72 :: v_dual_add_f32 v79, v79, v81
	v_sub_f32_e32 v57, v75, v86
	v_dual_add_f32 v75, v78, v71 :: v_dual_fmamk_f32 v78, v77, 0x3f737871, v8
	v_sub_f32_e32 v81, v96, v93
	v_sub_f32_e32 v82, v68, v71
	;; [unrolled: 1-line block ×3, first 2 shown]
	v_fmamk_f32 v76, v80, 0xbf737871, v74
	v_fmac_f32_e32 v78, 0xbf167918, v80
	s_delay_alu instid0(VALU_DEP_4) | instskip(NEXT) | instid1(VALU_DEP_3)
	v_dual_fmac_f32 v74, 0x3f737871, v80 :: v_dual_add_f32 v81, v81, v82
	v_dual_add_f32 v83, v11, v94 :: v_dual_fmac_f32 v76, 0xbf167918, v77
	v_fma_f32 v82, -0.5, v84, v11
	s_delay_alu instid0(VALU_DEP_3) | instskip(NEXT) | instid1(VALU_DEP_4)
	v_fmac_f32_e32 v74, 0x3f167918, v77
	v_fmac_f32_e32 v78, 0x3e9e377a, v81
	v_fmac_f32_e32 v8, 0xbf737871, v77
	v_dual_add_f32 v77, v83, v69 :: v_dual_sub_f32 v68, v96, v68
	v_sub_f32_e32 v71, v93, v71
	s_delay_alu instid0(VALU_DEP_3) | instskip(NEXT) | instid1(VALU_DEP_3)
	v_dual_sub_f32 v83, v94, v69 :: v_dual_fmac_f32 v8, 0x3f167918, v80
	v_dual_add_f32 v80, v94, v72 :: v_dual_add_f32 v77, v77, v70
	v_sub_f32_e32 v84, v72, v70
	s_delay_alu instid0(VALU_DEP_3) | instskip(NEXT) | instid1(VALU_DEP_3)
	v_dual_sub_f32 v69, v69, v94 :: v_dual_fmac_f32 v8, 0x3e9e377a, v81
	v_fmac_f32_e32 v11, -0.5, v80
	v_sub_f32_e32 v70, v70, v72
	v_fmac_f32_e32 v76, 0x3e9e377a, v79
	v_fmac_f32_e32 v74, 0x3e9e377a, v79
	v_fmamk_f32 v79, v71, 0x3f737871, v82
	v_fmamk_f32 v81, v68, 0xbf737871, v11
	v_dual_add_f32 v77, v77, v72 :: v_dual_fmac_f32 v82, 0xbf737871, v71
	v_add_f32_e32 v72, v41, v61
	v_add_f32_e32 v69, v69, v70
	s_delay_alu instid0(VALU_DEP_4) | instskip(SKIP_2) | instid1(VALU_DEP_3)
	v_fmac_f32_e32 v81, 0x3f167918, v71
	v_fmac_f32_e32 v11, 0x3f737871, v68
	v_dual_fmac_f32 v79, 0x3f167918, v68 :: v_dual_add_f32 v70, v65, v66
	v_dual_add_f32 v80, v83, v84 :: v_dual_fmac_f32 v81, 0x3e9e377a, v69
	v_fmac_f32_e32 v82, 0xbf167918, v68
	s_delay_alu instid0(VALU_DEP_4) | instskip(SKIP_2) | instid1(VALU_DEP_3)
	v_dual_add_f32 v68, v72, v65 :: v_dual_fmac_f32 v11, 0xbf167918, v71
	v_add_f32_e32 v71, v61, v73
	v_fma_f32 v70, -0.5, v70, v41
	v_dual_fmac_f32 v79, 0x3e9e377a, v80 :: v_dual_add_f32 v68, v68, v66
	s_delay_alu instid0(VALU_DEP_4)
	v_fmac_f32_e32 v11, 0x3e9e377a, v69
	v_sub_f32_e32 v69, v62, v63
	v_dual_fmac_f32 v41, -0.5, v71 :: v_dual_fmac_f32 v82, 0x3e9e377a, v80
	v_sub_f32_e32 v72, v60, v64
	v_add_f32_e32 v68, v68, v73
	v_sub_f32_e32 v80, v61, v65
	v_sub_f32_e32 v83, v73, v66
	v_fmamk_f32 v84, v69, 0x3f737871, v41
	v_sub_f32_e32 v85, v65, v61
	v_sub_f32_e32 v86, v66, v73
	s_delay_alu instid0(VALU_DEP_4) | instskip(SKIP_1) | instid1(VALU_DEP_3)
	v_dual_fmac_f32 v41, 0xbf737871, v69 :: v_dual_add_f32 v80, v80, v83
	v_fmamk_f32 v71, v72, 0xbf737871, v70
	v_dual_fmac_f32 v84, 0xbf167918, v72 :: v_dual_add_f32 v83, v85, v86
	s_delay_alu instid0(VALU_DEP_3) | instskip(SKIP_1) | instid1(VALU_DEP_4)
	v_fmac_f32_e32 v41, 0x3f167918, v72
	v_sub_f32_e32 v61, v61, v73
	v_fmac_f32_e32 v71, 0xbf167918, v69
	v_add_f32_e32 v73, v45, v60
	v_sub_f32_e32 v65, v65, v66
	v_fmac_f32_e32 v41, 0x3e9e377a, v83
	v_fmac_f32_e32 v70, 0x3f737871, v72
	v_add_f32_e32 v72, v60, v64
	v_dual_fmac_f32 v71, 0x3e9e377a, v80 :: v_dual_fmac_f32 v84, 0x3e9e377a, v83
	s_delay_alu instid0(VALU_DEP_3) | instskip(NEXT) | instid1(VALU_DEP_1)
	v_dual_sub_f32 v85, v63, v64 :: v_dual_fmac_f32 v70, 0x3f167918, v69
	v_dual_add_f32 v69, v62, v63 :: v_dual_fmac_f32 v70, 0x3e9e377a, v80
	s_delay_alu instid0(VALU_DEP_1) | instskip(SKIP_3) | instid1(VALU_DEP_4)
	v_fma_f32 v69, -0.5, v69, v45
	v_dual_fmac_f32 v45, -0.5, v72 :: v_dual_sub_f32 v72, v60, v62
	v_sub_f32_e32 v80, v64, v63
	v_sub_f32_e32 v60, v62, v60
	v_fmamk_f32 v66, v61, 0x3f737871, v69
	s_delay_alu instid0(VALU_DEP_4) | instskip(SKIP_3) | instid1(VALU_DEP_4)
	v_fmamk_f32 v83, v65, 0xbf737871, v45
	v_fmac_f32_e32 v45, 0x3f737871, v65
	v_dual_fmac_f32 v69, 0xbf737871, v61 :: v_dual_add_f32 v72, v72, v80
	v_add_f32_e32 v60, v60, v85
	v_fmac_f32_e32 v83, 0x3f167918, v61
	s_delay_alu instid0(VALU_DEP_4) | instskip(SKIP_4) | instid1(VALU_DEP_4)
	v_fmac_f32_e32 v45, 0xbf167918, v61
	v_add_f32_e32 v61, v73, v62
	v_fmac_f32_e32 v69, 0xbf167918, v65
	v_fmac_f32_e32 v66, 0x3f167918, v65
	;; [unrolled: 1-line block ×3, first 2 shown]
	v_dual_fmac_f32 v45, 0x3e9e377a, v60 :: v_dual_add_f32 v60, v61, v63
	s_delay_alu instid0(VALU_DEP_4) | instskip(NEXT) | instid1(VALU_DEP_4)
	v_fmac_f32_e32 v69, 0x3e9e377a, v72
	v_fmac_f32_e32 v66, 0x3e9e377a, v72
	s_delay_alu instid0(VALU_DEP_3) | instskip(NEXT) | instid1(VALU_DEP_4)
	v_dual_mul_f32 v62, 0xbf737871, v83 :: v_dual_mul_f32 v63, 0xbf737871, v45
	v_add_f32_e32 v60, v60, v64
	s_delay_alu instid0(VALU_DEP_3) | instskip(SKIP_1) | instid1(VALU_DEP_4)
	v_dual_mul_f32 v64, 0xbf167918, v69 :: v_dual_mul_f32 v61, 0xbf167918, v66
	v_mul_f32_e32 v66, 0x3f4f1bbd, v66
	v_fmac_f32_e32 v63, 0xbe9e377a, v41
	v_mul_f32_e32 v83, 0x3e9e377a, v83
	s_delay_alu instid0(VALU_DEP_4) | instskip(SKIP_3) | instid1(VALU_DEP_4)
	v_fmac_f32_e32 v64, 0xbf4f1bbd, v70
	v_mul_f32_e32 v45, 0xbe9e377a, v45
	v_fmac_f32_e32 v62, 0x3e9e377a, v84
	v_add_f32_e32 v80, v8, v63
	v_dual_sub_f32 v8, v8, v63 :: v_dual_add_f32 v85, v74, v64
	v_sub_f32_e32 v63, v74, v64
	v_add_f32_e32 v64, v5, v24
	v_add_f32_e32 v65, v75, v68
	v_mul_f32_e32 v69, 0xbf4f1bbd, v69
	v_fmac_f32_e32 v66, 0x3f167918, v71
	v_fmac_f32_e32 v83, 0x3f737871, v84
	v_dual_fmac_f32 v45, 0x3f737871, v41 :: v_dual_add_f32 v84, v77, v60
	v_dual_sub_f32 v41, v75, v68 :: v_dual_add_f32 v68, v37, v38
	v_dual_sub_f32 v75, v77, v60 :: v_dual_add_f32 v60, v64, v37
	v_dual_sub_f32 v74, v24, v37 :: v_dual_sub_f32 v77, v43, v38
	v_add_f32_e32 v73, v78, v62
	v_add_f32_e32 v86, v79, v66
	;; [unrolled: 1-line block ×3, first 2 shown]
	v_fma_f32 v68, -0.5, v68, v5
	v_sub_f32_e32 v66, v79, v66
	v_sub_f32_e32 v79, v11, v45
	v_add_f32_e32 v11, v60, v38
	v_fmac_f32_e32 v69, 0x3f167918, v70
	v_dual_add_f32 v45, v74, v77 :: v_dual_sub_f32 v74, v37, v24
	v_sub_f32_e32 v37, v37, v38
	v_sub_f32_e32 v62, v78, v62
	v_add_f32_e32 v78, v24, v43
	v_sub_f32_e32 v24, v24, v43
	v_dual_sub_f32 v70, v23, v21 :: v_dual_fmac_f32 v61, 0x3f4f1bbd, v71
	v_sub_f32_e32 v71, v34, v22
	s_delay_alu instid0(VALU_DEP_4) | instskip(NEXT) | instid1(VALU_DEP_3)
	v_dual_fmac_f32 v5, -0.5, v78 :: v_dual_add_f32 v78, v9, v23
	v_fmamk_f32 v64, v70, 0xbf737871, v68
	v_dual_fmac_f32 v68, 0x3f737871, v70 :: v_dual_add_f32 v11, v11, v43
	s_delay_alu instid0(VALU_DEP_3) | instskip(SKIP_1) | instid1(VALU_DEP_4)
	v_fmamk_f32 v60, v71, 0x3f737871, v5
	v_fmac_f32_e32 v5, 0xbf737871, v71
	v_fmac_f32_e32 v64, 0xbf167918, v71
	s_delay_alu instid0(VALU_DEP_4) | instskip(NEXT) | instid1(VALU_DEP_4)
	v_dual_fmac_f32 v68, 0x3f167918, v71 :: v_dual_add_f32 v71, v78, v34
	v_dual_sub_f32 v77, v38, v43 :: v_dual_fmac_f32 v60, 0xbf167918, v70
	s_delay_alu instid0(VALU_DEP_3) | instskip(SKIP_1) | instid1(VALU_DEP_4)
	v_fmac_f32_e32 v64, 0x3e9e377a, v45
	v_fmac_f32_e32 v5, 0x3f167918, v70
	v_add_f32_e32 v43, v71, v22
	v_add_f32_e32 v70, v23, v21
	v_sub_f32_e32 v38, v23, v34
	v_sub_f32_e32 v71, v21, v22
	;; [unrolled: 1-line block ×3, first 2 shown]
	v_add_f32_e32 v43, v43, v21
	v_sub_f32_e32 v21, v22, v21
	v_dual_add_f32 v72, v76, v61 :: v_dual_add_f32 v87, v81, v83
	v_sub_f32_e32 v61, v76, v61
	v_add_f32_e32 v74, v74, v77
	s_delay_alu instid0(VALU_DEP_4) | instskip(SKIP_1) | instid1(VALU_DEP_3)
	v_add_f32_e32 v21, v23, v21
	v_dual_add_f32 v23, v19, v20 :: v_dual_fmac_f32 v68, 0x3e9e377a, v45
	v_dual_sub_f32 v78, v20, v17 :: v_dual_fmac_f32 v5, 0x3e9e377a, v74
	v_fmac_f32_e32 v60, 0x3e9e377a, v74
	s_delay_alu instid0(VALU_DEP_3) | instskip(SKIP_3) | instid1(VALU_DEP_3)
	v_fma_f32 v23, -0.5, v23, v6
	v_dual_sub_f32 v76, v81, v83 :: v_dual_add_f32 v81, v34, v22
	v_dual_sub_f32 v74, v19, v16 :: v_dual_add_f32 v89, v82, v69
	v_sub_f32_e32 v69, v82, v69
	v_fma_f32 v77, -0.5, v81, v9
	v_fmac_f32_e32 v9, -0.5, v70
	s_delay_alu instid0(VALU_DEP_2) | instskip(NEXT) | instid1(VALU_DEP_2)
	v_fmamk_f32 v45, v24, 0x3f737871, v77
	v_fmamk_f32 v70, v37, 0xbf737871, v9
	v_fmac_f32_e32 v9, 0x3f737871, v37
	v_fmac_f32_e32 v77, 0xbf737871, v24
	s_delay_alu instid0(VALU_DEP_3) | instskip(NEXT) | instid1(VALU_DEP_3)
	v_dual_fmac_f32 v45, 0x3f167918, v37 :: v_dual_fmac_f32 v70, 0x3f167918, v24
	v_fmac_f32_e32 v9, 0xbf167918, v24
	s_delay_alu instid0(VALU_DEP_3) | instskip(SKIP_1) | instid1(VALU_DEP_4)
	v_fmac_f32_e32 v77, 0xbf167918, v37
	v_add_f32_e32 v24, v16, v17
	v_dual_sub_f32 v37, v16, v19 :: v_dual_fmac_f32 v70, 0x3e9e377a, v21
	s_delay_alu instid0(VALU_DEP_4) | instskip(SKIP_2) | instid1(VALU_DEP_3)
	v_dual_fmac_f32 v9, 0x3e9e377a, v21 :: v_dual_add_f32 v22, v6, v16
	v_sub_f32_e32 v34, v15, v7
	v_sub_f32_e32 v16, v16, v17
	v_dual_add_f32 v22, v22, v19 :: v_dual_sub_f32 v19, v19, v20
	s_delay_alu instid0(VALU_DEP_1) | instskip(NEXT) | instid1(VALU_DEP_1)
	v_add_f32_e32 v22, v22, v20
	v_add_f32_e32 v21, v22, v17
	;; [unrolled: 1-line block ×3, first 2 shown]
	s_delay_alu instid0(VALU_DEP_1) | instskip(SKIP_4) | instid1(VALU_DEP_4)
	v_dual_sub_f32 v22, v12, v13 :: v_dual_fmac_f32 v77, 0x3e9e377a, v38
	v_fmac_f32_e32 v6, -0.5, v24
	v_fmamk_f32 v24, v34, 0xbf737871, v23
	v_fmac_f32_e32 v23, 0x3f737871, v34
	v_dual_fmac_f32 v45, 0x3e9e377a, v38 :: v_dual_sub_f32 v38, v17, v20
	v_fmamk_f32 v71, v22, 0x3f737871, v6
	s_delay_alu instid0(VALU_DEP_4) | instskip(NEXT) | instid1(VALU_DEP_4)
	v_fmac_f32_e32 v24, 0xbf167918, v22
	v_fmac_f32_e32 v23, 0x3f167918, v22
	;; [unrolled: 1-line block ×3, first 2 shown]
	v_dual_add_f32 v22, v12, v13 :: v_dual_add_f32 v37, v37, v38
	v_fmac_f32_e32 v71, 0xbf167918, v34
	s_delay_alu instid0(VALU_DEP_3) | instskip(SKIP_1) | instid1(VALU_DEP_4)
	v_dual_add_f32 v17, v14, v15 :: v_dual_fmac_f32 v6, 0x3f167918, v34
	v_add_f32_e32 v34, v15, v7
	v_fma_f32 v22, -0.5, v22, v14
	v_fmac_f32_e32 v24, 0x3e9e377a, v37
	v_fmac_f32_e32 v23, 0x3e9e377a, v37
	s_delay_alu instid0(VALU_DEP_4) | instskip(NEXT) | instid1(VALU_DEP_4)
	v_dual_sub_f32 v37, v7, v13 :: v_dual_fmac_f32 v14, -0.5, v34
	v_fmamk_f32 v20, v16, 0x3f737871, v22
	v_sub_f32_e32 v34, v15, v12
	v_dual_fmac_f32 v22, 0xbf737871, v16 :: v_dual_sub_f32 v15, v12, v15
	v_add_f32_e32 v12, v17, v12
	s_delay_alu instid0(VALU_DEP_4) | instskip(NEXT) | instid1(VALU_DEP_4)
	v_fmac_f32_e32 v20, 0x3f167918, v19
	v_add_f32_e32 v34, v34, v37
	s_delay_alu instid0(VALU_DEP_4)
	v_fmac_f32_e32 v22, 0xbf167918, v19
	v_add_f32_e32 v38, v74, v78
	v_add_f32_e32 v12, v12, v13
	v_sub_f32_e32 v74, v13, v7
	v_fmac_f32_e32 v20, 0x3e9e377a, v34
	v_fmac_f32_e32 v22, 0x3e9e377a, v34
	;; [unrolled: 1-line block ×3, first 2 shown]
	v_dual_add_f32 v7, v12, v7 :: v_dual_fmac_f32 v6, 0x3e9e377a, v38
	s_delay_alu instid0(VALU_DEP_3) | instskip(SKIP_3) | instid1(VALU_DEP_4)
	v_dual_mul_f32 v13, 0xbf167918, v20 :: v_dual_mul_f32 v12, 0xbf167918, v22
	v_mul_f32_e32 v20, 0x3f4f1bbd, v20
	v_fmamk_f32 v38, v19, 0xbf737871, v14
	v_dual_fmac_f32 v14, 0x3f737871, v19 :: v_dual_add_f32 v15, v15, v74
	v_fmac_f32_e32 v12, 0xbf4f1bbd, v23
	s_delay_alu instid0(VALU_DEP_4)
	v_fmac_f32_e32 v20, 0x3f167918, v24
	v_fmac_f32_e32 v13, 0x3f4f1bbd, v24
	v_add_f32_e32 v17, v11, v21
	v_add_f32_e32 v78, v43, v7
	;; [unrolled: 1-line block ×4, first 2 shown]
	v_sub_f32_e32 v12, v68, v12
	v_sub_f32_e32 v68, v45, v20
	v_add_nc_u32_e32 v45, 0x3200, v0
	v_fmac_f32_e32 v38, 0x3f167918, v16
	v_dual_fmac_f32 v14, 0xbf167918, v16 :: v_dual_add_f32 v19, v64, v13
	s_delay_alu instid0(VALU_DEP_2) | instskip(NEXT) | instid1(VALU_DEP_2)
	v_fmac_f32_e32 v38, 0x3e9e377a, v15
	v_fmac_f32_e32 v14, 0x3e9e377a, v15
	s_delay_alu instid0(VALU_DEP_2) | instskip(NEXT) | instid1(VALU_DEP_2)
	v_mul_f32_e32 v15, 0xbf737871, v38
	v_mul_f32_e32 v16, 0xbf737871, v14
	;; [unrolled: 1-line block ×3, first 2 shown]
	s_delay_alu instid0(VALU_DEP_3) | instskip(NEXT) | instid1(VALU_DEP_3)
	v_dual_mul_f32 v38, 0x3e9e377a, v38 :: v_dual_fmac_f32 v15, 0x3e9e377a, v71
	v_fmac_f32_e32 v16, 0xbe9e377a, v6
	s_delay_alu instid0(VALU_DEP_3)
	v_fmac_f32_e32 v14, 0x3f737871, v6
	v_sub_f32_e32 v6, v11, v21
	v_sub_f32_e32 v11, v64, v13
	v_add_f32_e32 v34, v60, v15
	v_sub_f32_e32 v13, v60, v15
	v_and_b32_e32 v15, 0xffff, v39
	v_dual_add_f32 v83, v9, v14 :: v_dual_sub_f32 v64, v43, v7
	v_sub_f32_e32 v92, v9, v14
	v_lshlrev_b32_e32 v9, 2, v30
	s_delay_alu instid0(VALU_DEP_4) | instskip(SKIP_2) | instid1(VALU_DEP_3)
	v_mul_u32_u24_e32 v7, 0x190, v15
	v_dual_add_f32 v37, v5, v16 :: v_dual_and_b32 v14, 0xffff, v26
	v_dual_sub_f32 v5, v5, v16 :: v_dual_fmac_f32 v38, 0x3f737871, v71
	v_add3_u32 v93, 0, v7, v9
	s_delay_alu instid0(VALU_DEP_3)
	v_mul_u32_u24_e32 v7, 0x190, v14
	v_lshlrev_b32_e32 v9, 2, v32
	ds_store_2addr_b32 v93, v10, v18 offset1:10
	ds_store_2addr_b32 v93, v40, v42 offset0:20 offset1:30
	v_add_nc_u32_e32 v42, 0x2200, v0
	v_add3_u32 v94, 0, v7, v9
	v_mul_u32_u24_e32 v7, 0x190, v25
	v_lshlrev_b32_e32 v9, 2, v31
	ds_store_2addr_b32 v93, v44, v46 offset0:40 offset1:50
	ds_store_2addr_b32 v93, v47, v48 offset0:60 offset1:70
	;; [unrolled: 1-line block ×3, first 2 shown]
	ds_store_2addr_b32 v94, v65, v72 offset1:10
	v_dual_add_f32 v82, v70, v38 :: v_dual_add_nc_u32 v39, 0x1000, v0
	v_sub_f32_e32 v91, v70, v38
	v_add3_u32 v58, 0, v7, v9
	ds_store_2addr_b32 v94, v73, v80 offset0:20 offset1:30
	ds_store_2addr_b32 v94, v85, v41 offset0:40 offset1:50
	;; [unrolled: 1-line block ×4, first 2 shown]
	ds_store_2addr_b32 v58, v17, v19 offset1:10
	ds_store_2addr_b32 v58, v34, v37 offset0:20 offset1:30
	ds_store_2addr_b32 v58, v74, v6 offset0:40 offset1:50
	;; [unrolled: 1-line block ×4, first 2 shown]
	v_add_nc_u32_e32 v5, 0xffffff9c, v67
	v_add_nc_u32_e32 v37, 0x800, v0
	global_wb scope:SCOPE_SE
	s_wait_dscnt 0x0
	s_barrier_signal -1
	s_barrier_wait -1
	global_inv scope:SCOPE_SE
	ds_load_2addr_b32 v[9:10], v0 offset1:120
	ds_load_2addr_b32 v[60:61], v37 offset0:88 offset1:208
	ds_load_2addr_b32 v[19:20], v39 offset0:56 offset1:176
	v_add_nc_u32_e32 v38, 0x2e00, v0
	ds_load_2addr_b32 v[15:16], v42 offset0:104 offset1:224
	v_mul_f32_e32 v22, 0xbf4f1bbd, v22
	s_wait_alu 0xf1ff
	v_cndmask_b32_e64 v32, v5, v67, s0
	v_add_nc_u32_e32 v41, 0x1400, v0
	v_add_nc_u32_e32 v40, 0x2600, v0
	;; [unrolled: 1-line block ×3, first 2 shown]
	ds_load_2addr_b32 v[70:71], v36 offset0:8 offset1:128
	ds_load_2addr_b32 v[13:14], v38 offset0:56 offset1:176
	;; [unrolled: 1-line block ×6, first 2 shown]
	v_fmac_f32_e32 v22, 0x3f167918, v23
	v_add_nc_u32_e32 v44, 0x1e00, v0
	v_mul_i32_i24_e32 v5, 5, v32
	v_mov_b32_e32 v6, 0
	v_add_nc_u32_e32 v46, 0x1800, v0
	v_add_nc_u32_e32 v48, 0x2a00, v0
	v_lshl_add_u32 v47, v67, 2, 0
	v_add_f32_e32 v90, v77, v22
	v_sub_f32_e32 v77, v77, v22
	ds_load_2addr_b32 v[21:22], v44 offset0:120 offset1:240
	ds_load_2addr_b32 v[11:12], v45 offset0:40 offset1:160
	ds_load_2addr_b32 v[23:24], v46 offset0:24 offset1:144
	ds_load_2addr_b32 v[17:18], v48 offset0:72 offset1:192
	ds_load_b32 v30, v47 offset:1920
	ds_load_b32 v31, v0 offset:13920
	global_wb scope:SCOPE_SE
	s_wait_dscnt 0x0
	s_barrier_signal -1
	s_barrier_wait -1
	global_inv scope:SCOPE_SE
	ds_store_2addr_b32 v93, v52, v53 offset1:10
	ds_store_2addr_b32 v93, v54, v55 offset0:20 offset1:30
	ds_store_2addr_b32 v93, v33, v49 offset0:40 offset1:50
	ds_store_2addr_b32 v93, v50, v51 offset0:60 offset1:70
	ds_store_2addr_b32 v93, v56, v57 offset0:80 offset1:90
	ds_store_2addr_b32 v94, v84, v86 offset1:10
	v_lshlrev_b64_e32 v[33:34], 3, v[5:6]
	v_mul_lo_u16 v5, 0x64, v28
	v_lshrrev_b16 v49, 2, v27
	ds_store_2addr_b32 v94, v87, v88 offset0:20 offset1:30
	ds_store_2addr_b32 v94, v89, v75 offset0:40 offset1:50
	;; [unrolled: 1-line block ×4, first 2 shown]
	ds_store_2addr_b32 v58, v78, v81 offset1:10
	ds_store_2addr_b32 v58, v82, v83 offset0:20 offset1:30
	ds_store_2addr_b32 v58, v90, v64 offset0:40 offset1:50
	;; [unrolled: 1-line block ×4, first 2 shown]
	v_add_co_u32 v50, s0, s8, v33
	v_sub_nc_u16 v5, v29, v5
	v_and_b32_e32 v33, 0xffff, v49
	s_wait_alu 0xf1ff
	v_add_co_ci_u32_e64 v51, s0, s9, v34, s0
	v_add_nc_u32_e32 v49, 0x1e0, v67
	v_and_b32_e32 v29, 0xff, v5
	v_mul_u32_u24_e32 v5, 0x147b, v33
	v_add_nc_u16 v33, v67, 0x168
	global_wb scope:SCOPE_SE
	s_wait_dscnt 0x0
	s_barrier_signal -1
	v_mul_u32_u24_e32 v34, 5, v29
	v_lshrrev_b32_e32 v5, 17, v5
	v_lshrrev_b16 v62, 2, v33
	s_barrier_wait -1
	global_inv scope:SCOPE_SE
	v_lshlrev_b32_e32 v69, 3, v34
	v_mul_lo_u16 v34, 0x64, v5
	v_and_b32_e32 v62, 0xffff, v62
	global_load_b128 v[52:55], v[50:51], off offset:720
	v_lshrrev_b16 v68, 2, v49
	global_load_b128 v[56:59], v[50:51], off offset:736
	v_sub_nc_u16 v27, v27, v34
	v_mul_u32_u24_e32 v34, 0x147b, v62
	s_clause 0x1
	global_load_b128 v[63:66], v69, s[8:9] offset:720
	global_load_b128 v[76:79], v69, s[8:9] offset:736
	v_and_b32_e32 v62, 0xffff, v68
	v_and_b32_e32 v75, 0xffff, v27
	v_lshrrev_b32_e32 v34, 17, v34
	v_cmp_lt_u32_e64 s0, 0x63, v67
	v_lshlrev_b32_e32 v32, 2, v32
	v_mul_u32_u24_e32 v27, 0x147b, v62
	v_mul_u32_u24_e32 v62, 5, v75
	v_mul_lo_u16 v68, 0x64, v34
	v_mul_u32_u24_e32 v5, 0x960, v5
	v_lshlrev_b32_e32 v29, 2, v29
	v_lshrrev_b32_e32 v27, 17, v27
	v_lshlrev_b32_e32 v62, 3, v62
	v_sub_nc_u16 v33, v33, v68
	s_delay_alu instid0(VALU_DEP_3)
	v_mul_lo_u16 v72, 0x64, v27
	s_clause 0x1
	global_load_b128 v[83:86], v62, s[8:9] offset:720
	global_load_b128 v[87:90], v62, s[8:9] offset:736
	v_and_b32_e32 v68, 0xffff, v33
	v_sub_nc_u16 v33, v49, v72
	s_delay_alu instid0(VALU_DEP_2) | instskip(NEXT) | instid1(VALU_DEP_2)
	v_mul_u32_u24_e32 v72, 5, v68
	v_and_b32_e32 v33, 0xffff, v33
	s_delay_alu instid0(VALU_DEP_2) | instskip(NEXT) | instid1(VALU_DEP_2)
	v_lshlrev_b32_e32 v72, 3, v72
	v_mul_u32_u24_e32 v80, 5, v33
	global_load_b128 v[91:94], v72, s[8:9] offset:720
	v_lshlrev_b32_e32 v80, 3, v80
	s_clause 0x7
	global_load_b128 v[95:98], v80, s[8:9] offset:720
	global_load_b128 v[99:102], v72, s[8:9] offset:736
	;; [unrolled: 1-line block ×3, first 2 shown]
	global_load_b64 v[109:110], v[50:51], off offset:752
	global_load_b64 v[111:112], v69, s[8:9] offset:752
	global_load_b64 v[113:114], v62, s[8:9] offset:752
	;; [unrolled: 1-line block ×4, first 2 shown]
	ds_load_2addr_b32 v[119:120], v37 offset0:88 offset1:208
	ds_load_2addr_b32 v[121:122], v39 offset0:56 offset1:176
	;; [unrolled: 1-line block ×6, first 2 shown]
	s_wait_loadcnt 0xe
	v_mul_f32_e32 v50, v60, v53
	s_wait_dscnt 0x5
	v_mul_f32_e32 v51, v119, v53
	s_wait_dscnt 0x4
	v_mul_f32_e32 v81, v122, v55
	v_mul_f32_e32 v55, v20, v55
	v_fma_f32 v53, v119, v52, -v50
	s_wait_loadcnt 0xd
	s_delay_alu instid0(VALU_DEP_3) | instskip(NEXT) | instid1(VALU_DEP_3)
	v_dual_mul_f32 v50, v70, v57 :: v_dual_fmac_f32 v81, v20, v54
	v_fma_f32 v20, v122, v54, -v55
	s_wait_dscnt 0x3
	v_mul_f32_e32 v119, v123, v57
	ds_load_2addr_b32 v[54:55], v43 offset0:72 offset1:192
	v_fma_f32 v122, v123, v56, -v50
	s_wait_loadcnt 0xc
	v_mul_f32_e32 v50, v61, v64
	s_wait_loadcnt_dscnt 0xb02
	v_dual_mul_f32 v72, v129, v79 :: v_dual_fmac_f32 v51, v60, v52
	v_mul_f32_e32 v82, v126, v59
	v_mul_f32_e32 v52, v16, v59
	v_fma_f32 v69, v120, v63, -v50
	v_mul_f32_e32 v50, v71, v77
	v_mul_f32_e32 v62, v120, v64
	v_dual_mul_f32 v120, v124, v77 :: v_dual_fmac_f32 v119, v70, v56
	v_fmac_f32_e32 v82, v16, v58
	s_delay_alu instid0(VALU_DEP_4)
	v_fma_f32 v123, v124, v76, -v50
	v_mul_f32_e32 v50, v107, v79
	ds_load_2addr_b32 v[79:80], v46 offset0:24 offset1:144
	s_wait_loadcnt_dscnt 0xa02
	v_mul_f32_e32 v57, v128, v86
	v_fma_f32 v16, v126, v58, -v52
	v_fmac_f32_e32 v62, v61, v63
	v_mul_f32_e32 v70, v127, v66
	v_mul_f32_e32 v52, v73, v66
	ds_load_2addr_b32 v[63:64], v44 offset0:120 offset1:240
	v_dual_fmac_f32 v57, v74, v85 :: v_dual_mul_f32 v56, v25, v84
	s_wait_loadcnt 0x9
	v_mul_f32_e32 v61, v130, v90
	v_fma_f32 v60, v129, v78, -v50
	v_mul_f32_e32 v50, v74, v86
	v_fmac_f32_e32 v72, v107, v78
	s_wait_dscnt 0x2
	v_fma_f32 v56, v54, v83, -v56
	v_fmac_f32_e32 v61, v108, v89
	s_wait_loadcnt 0x8
	v_mul_f32_e32 v59, v23, v94
	v_fma_f32 v66, v128, v85, -v50
	v_mul_f32_e32 v50, v21, v88
	ds_load_2addr_b32 v[85:86], v38 offset0:56 offset1:176
	s_wait_dscnt 0x2
	v_fma_f32 v77, v79, v93, -v59
	v_fmac_f32_e32 v120, v71, v76
	v_mul_f32_e32 v71, v55, v92
	v_mul_f32_e32 v76, v79, v94
	s_wait_loadcnt 0x2
	s_delay_alu instid0(VALU_DEP_2)
	v_dual_mul_f32 v78, v11, v114 :: v_dual_fmac_f32 v71, v26, v91
	v_fmac_f32_e32 v70, v73, v65
	v_fma_f32 v73, v127, v65, -v52
	v_mul_f32_e32 v52, v54, v84
	v_mul_f32_e32 v54, v108, v90
	v_fmac_f32_e32 v76, v23, v93
	v_dual_mul_f32 v23, v19, v96 :: v_dual_add_f32 v90, v10, v70
	s_delay_alu instid0(VALU_DEP_4)
	v_fmac_f32_e32 v52, v25, v83
	ds_load_2addr_b32 v[83:84], v48 offset0:72 offset1:192
	s_wait_dscnt 0x2
	v_mul_f32_e32 v25, v63, v88
	v_fma_f32 v58, v130, v89, -v54
	v_mul_f32_e32 v54, v26, v92
	s_delay_alu instid0(VALU_DEP_3)
	v_dual_mul_f32 v26, v24, v98 :: v_dual_fmac_f32 v25, v21, v87
	v_fma_f32 v21, v63, v87, -v50
	v_mul_f32_e32 v50, v121, v96
	ds_load_2addr_b32 v[87:88], v45 offset0:40 offset1:160
	v_fma_f32 v74, v55, v91, -v54
	v_mul_f32_e32 v55, v80, v98
	v_fma_f32 v54, v121, v95, -v23
	v_dual_fmac_f32 v50, v19, v95 :: v_dual_mul_f32 v23, v64, v100
	v_mul_f32_e32 v19, v22, v100
	s_delay_alu instid0(VALU_DEP_4) | instskip(SKIP_1) | instid1(VALU_DEP_4)
	v_dual_fmac_f32 v55, v24, v97 :: v_dual_mul_f32 v24, v17, v102
	v_fma_f32 v59, v80, v97, -v26
	v_fmac_f32_e32 v23, v22, v99
	s_wait_dscnt 0x1
	v_mul_f32_e32 v79, v83, v102
	v_fma_f32 v22, v64, v99, -v19
	v_mul_f32_e32 v19, v125, v104
	v_fma_f32 v65, v83, v101, -v24
	ds_load_b32 v24, v0 offset:13920
	v_fmac_f32_e32 v79, v17, v101
	v_mul_f32_e32 v17, v15, v104
	v_fmac_f32_e32 v19, v15, v103
	v_mul_f32_e32 v83, v85, v110
	v_mul_f32_e32 v63, v84, v106
	;; [unrolled: 1-line block ×3, first 2 shown]
	v_fma_f32 v15, v125, v103, -v17
	v_mul_f32_e32 v17, v13, v110
	v_fmac_f32_e32 v83, v13, v109
	v_fmac_f32_e32 v63, v18, v105
	v_fma_f32 v64, v84, v105, -v26
	v_mul_f32_e32 v18, v86, v112
	v_fma_f32 v13, v85, v109, -v17
	s_wait_dscnt 0x1
	v_mul_f32_e32 v17, v87, v114
	v_dual_add_f32 v95, v53, v122 :: v_dual_mul_f32 v26, v14, v112
	v_fmac_f32_e32 v18, v14, v111
	s_wait_loadcnt 0x1
	s_delay_alu instid0(VALU_DEP_3)
	v_dual_mul_f32 v14, v88, v116 :: v_dual_fmac_f32 v17, v11, v113
	s_wait_loadcnt 0x0
	v_dual_mul_f32 v11, v12, v116 :: v_dual_mul_f32 v84, v31, v118
	v_add_f32_e32 v95, v95, v13
	v_fma_f32 v80, v86, v111, -v26
	v_add_f32_e32 v111, v54, v15
	s_delay_alu instid0(VALU_DEP_4)
	v_fma_f32 v88, v88, v115, -v11
	v_add_f32_e32 v11, v119, v83
	v_fma_f32 v78, v87, v113, -v78
	ds_load_b32 v87, v47 offset:1920
	s_wait_dscnt 0x1
	v_mul_f32_e32 v26, v24, v118
	v_fma_f32 v89, v24, v117, -v84
	v_add_f32_e32 v24, v51, v119
	v_fmac_f32_e32 v51, -0.5, v11
	v_add_f32_e32 v11, v123, v80
	v_add_f32_e32 v91, v69, v123
	v_dual_add_f32 v85, v70, v72 :: v_dual_fmac_f32 v26, v31, v117
	v_add_f32_e32 v31, v122, v13
	s_delay_alu instid0(VALU_DEP_4) | instskip(NEXT) | instid1(VALU_DEP_3)
	v_fmac_f32_e32 v69, -0.5, v11
	v_dual_sub_f32 v11, v120, v18 :: v_dual_fmac_f32 v10, -0.5, v85
	v_fmac_f32_e32 v14, v12, v115
	s_delay_alu instid0(VALU_DEP_4) | instskip(SKIP_1) | instid1(VALU_DEP_4)
	v_fmac_f32_e32 v53, -0.5, v31
	v_add_f32_e32 v85, v9, v81
	v_fmamk_f32 v93, v11, 0x3f5db3d7, v69
	v_fmac_f32_e32 v69, 0xbf5db3d7, v11
	v_dual_sub_f32 v11, v73, v60 :: v_dual_add_f32 v24, v24, v83
	v_add_f32_e32 v84, v120, v18
	s_delay_alu instid0(VALU_DEP_2) | instskip(SKIP_4) | instid1(VALU_DEP_2)
	v_dual_add_f32 v118, v73, v60 :: v_dual_fmamk_f32 v31, v11, 0xbf5db3d7, v10
	v_fmac_f32_e32 v10, 0x3f5db3d7, v11
	v_sub_f32_e32 v11, v119, v83
	s_wait_alu 0xf1ff
	v_cndmask_b32_e64 v83, 0, 0x960, s0
	v_fmamk_f32 v96, v11, 0x3f5db3d7, v53
	s_delay_alu instid0(VALU_DEP_2) | instskip(SKIP_2) | instid1(VALU_DEP_3)
	v_add3_u32 v101, 0, v83, v32
	v_fmac_f32_e32 v53, 0xbf5db3d7, v11
	v_sub_f32_e32 v11, v20, v16
	v_dual_add_f32 v12, v81, v82 :: v_dual_add_nc_u32 v103, 0x200, v101
	v_add_f32_e32 v100, v85, v82
	v_sub_f32_e32 v81, v81, v82
	s_delay_alu instid0(VALU_DEP_3) | instskip(SKIP_2) | instid1(VALU_DEP_3)
	v_fma_f32 v9, -0.5, v12, v9
	v_sub_f32_e32 v12, v122, v13
	v_mul_u32_u24_e32 v13, 0x960, v34
	v_fmamk_f32 v32, v11, 0xbf5db3d7, v9
	s_delay_alu instid0(VALU_DEP_3)
	v_fmamk_f32 v97, v12, 0xbf5db3d7, v51
	v_fmac_f32_e32 v51, 0x3f5db3d7, v12
	v_mul_f32_e32 v12, 0xbf5db3d7, v53
	v_fmac_f32_e32 v9, 0x3f5db3d7, v11
	v_mul_f32_e32 v53, -0.5, v53
	v_add_f32_e32 v11, v100, v24
	v_add_f32_e32 v92, v62, v120
	v_fmac_f32_e32 v62, -0.5, v84
	s_delay_alu instid0(VALU_DEP_4) | instskip(SKIP_2) | instid1(VALU_DEP_3)
	v_dual_sub_f32 v84, v123, v80 :: v_dual_fmac_f32 v53, 0x3f5db3d7, v51
	v_and_b32_e32 v28, 0xffff, v28
	v_dual_fmac_f32 v12, -0.5, v51 :: v_dual_mul_f32 v51, 0.5, v93
	v_fmamk_f32 v94, v84, 0xbf5db3d7, v62
	v_fmac_f32_e32 v62, 0x3f5db3d7, v84
	v_mul_f32_e32 v84, 0xbf5db3d7, v69
	v_mul_f32_e32 v69, -0.5, v69
	v_mul_u32_u24_e32 v28, 0x960, v28
	v_add_f32_e32 v18, v92, v18
	v_add_nc_u32_e32 v92, 0x400, v101
	v_fmac_f32_e32 v84, -0.5, v62
	v_add_f32_e32 v120, v77, v65
	v_add3_u32 v104, 0, v28, v29
	s_delay_alu instid0(VALU_DEP_3)
	v_add_f32_e32 v99, v10, v84
	v_sub_f32_e32 v10, v10, v84
	ds_load_2addr_b32 v[83:84], v0 offset1:120
	ds_load_2addr_b32 v[85:86], v35 offset0:112 offset1:232
	global_wb scope:SCOPE_SE
	s_wait_dscnt 0x0
	s_barrier_signal -1
	s_barrier_wait -1
	global_inv scope:SCOPE_SE
	v_add_nc_u32_e32 v105, 0x400, v104
	v_dual_add_f32 v73, v84, v73 :: v_dual_mul_f32 v98, 0xbf5db3d7, v96
	v_mul_f32_e32 v82, 0.5, v96
	v_fmac_f32_e32 v84, -0.5, v118
	s_delay_alu instid0(VALU_DEP_3) | instskip(NEXT) | instid1(VALU_DEP_4)
	v_add_f32_e32 v60, v73, v60
	v_dual_fmac_f32 v98, 0.5, v97 :: v_dual_add_f32 v73, v91, v80
	v_add_f32_e32 v90, v90, v72
	v_fmac_f32_e32 v82, 0x3f5db3d7, v97
	v_sub_f32_e32 v24, v100, v24
	s_delay_alu instid0(VALU_DEP_4) | instskip(SKIP_4) | instid1(VALU_DEP_3)
	v_add_f32_e32 v102, v32, v98
	v_sub_f32_e32 v32, v32, v98
	v_mul_f32_e32 v98, 0xbf5db3d7, v93
	v_add_f32_e32 v100, v9, v12
	v_dual_sub_f32 v9, v9, v12 :: v_dual_add_f32 v12, v90, v18
	v_fmac_f32_e32 v98, 0.5, v94
	s_delay_alu instid0(VALU_DEP_1)
	v_add_f32_e32 v28, v31, v98
	ds_store_2addr_b32 v101, v11, v102 offset1:100
	ds_store_2addr_b32 v103, v100, v24 offset0:72 offset1:172
	ds_store_2addr_b32 v92, v32, v9 offset0:144 offset1:244
	ds_store_2addr_b32 v104, v12, v28 offset1:100
	v_dual_sub_f32 v9, v90, v18 :: v_dual_add_nc_u32 v90, 0x200, v104
	v_dual_add_f32 v11, v22, v88 :: v_dual_add_f32 v24, v23, v14
	v_sub_f32_e32 v18, v31, v98
	v_add_f32_e32 v98, v74, v22
	ds_store_2addr_b32 v90, v99, v9 offset0:72 offset1:172
	ds_store_2addr_b32 v105, v18, v10 offset0:144 offset1:244
	v_dual_fmac_f32 v74, -0.5, v11 :: v_dual_sub_f32 v11, v23, v14
	v_add_f32_e32 v23, v71, v23
	v_dual_fmac_f32 v71, -0.5, v24 :: v_dual_add_f32 v24, v57, v61
	v_add_f32_e32 v10, v21, v78
	v_add_f32_e32 v18, v25, v17
	v_dual_add_f32 v99, v56, v21 :: v_dual_sub_f32 v22, v22, v88
	s_delay_alu instid0(VALU_DEP_4) | instskip(NEXT) | instid1(VALU_DEP_4)
	v_fma_f32 v9, -0.5, v24, v7
	v_fmac_f32_e32 v56, -0.5, v10
	v_sub_f32_e32 v10, v25, v17
	v_add_f32_e32 v7, v7, v57
	v_fmamk_f32 v100, v11, 0x3f5db3d7, v74
	v_fmac_f32_e32 v74, 0xbf5db3d7, v11
	v_fmamk_f32 v102, v22, 0xbf5db3d7, v71
	v_fmamk_f32 v106, v10, 0x3f5db3d7, v56
	v_dual_fmac_f32 v56, 0xbf5db3d7, v10 :: v_dual_add_f32 v7, v7, v61
	v_add_f32_e32 v24, v52, v25
	v_fmac_f32_e32 v52, -0.5, v18
	v_dual_sub_f32 v18, v21, v78 :: v_dual_lshlrev_b32 v21, 2, v75
	s_delay_alu instid0(VALU_DEP_3) | instskip(SKIP_1) | instid1(VALU_DEP_3)
	v_dual_mul_f32 v10, 0xbf5db3d7, v106 :: v_dual_add_f32 v17, v24, v17
	v_sub_f32_e32 v24, v66, v58
	v_fmamk_f32 v107, v18, 0xbf5db3d7, v52
	v_fmac_f32_e32 v52, 0x3f5db3d7, v18
	v_mul_f32_e32 v18, 0xbf5db3d7, v56
	v_add3_u32 v5, 0, v5, v21
	v_fmamk_f32 v25, v24, 0xbf5db3d7, v9
	v_fmac_f32_e32 v9, 0x3f5db3d7, v24
	s_delay_alu instid0(VALU_DEP_4) | instskip(SKIP_3) | instid1(VALU_DEP_4)
	v_dual_add_f32 v21, v7, v17 :: v_dual_fmac_f32 v18, -0.5, v52
	v_sub_f32_e32 v7, v7, v17
	v_sub_f32_e32 v11, v77, v65
	v_dual_fmac_f32 v71, 0x3f5db3d7, v22 :: v_dual_fmac_f32 v10, 0.5, v107
	v_dual_add_f32 v17, v9, v18 :: v_dual_add_f32 v12, v76, v79
	v_add_f32_e32 v28, v8, v76
	v_add_nc_u32_e32 v108, 0x200, v5
	s_delay_alu instid0(VALU_DEP_4)
	v_add_f32_e32 v24, v25, v10
	v_sub_f32_e32 v10, v25, v10
	v_fmac_f32_e32 v8, -0.5, v12
	v_mul_f32_e32 v12, 0xbf5db3d7, v74
	v_sub_f32_e32 v9, v9, v18
	v_dual_add_f32 v18, v83, v20 :: v_dual_add_nc_u32 v109, 0x400, v5
	s_delay_alu instid0(VALU_DEP_4)
	v_fmamk_f32 v22, v11, 0xbf5db3d7, v8
	v_fmac_f32_e32 v8, 0x3f5db3d7, v11
	v_fmac_f32_e32 v12, -0.5, v71
	ds_store_2addr_b32 v5, v21, v24 offset1:100
	ds_store_2addr_b32 v108, v17, v7 offset0:72 offset1:172
	ds_store_2addr_b32 v109, v10, v9 offset0:144 offset1:244
	v_dual_add_f32 v9, v23, v14 :: v_dual_mul_f32 v10, 0xbf5db3d7, v100
	v_add_f32_e32 v110, v18, v16
	v_add_f32_e32 v11, v8, v12
	v_sub_f32_e32 v8, v8, v12
	v_add_f32_e32 v12, v28, v79
	v_add_f32_e32 v7, v20, v16
	v_lshlrev_b32_e32 v14, 2, v68
	v_dual_fmac_f32 v10, 0.5, v102 :: v_dual_add_f32 v17, v50, v19
	s_delay_alu instid0(VALU_DEP_4) | instskip(SKIP_1) | instid1(VALU_DEP_4)
	v_add_f32_e32 v16, v12, v9
	v_dual_sub_f32 v9, v12, v9 :: v_dual_add_f32 v12, v55, v63
	v_add3_u32 v96, 0, v13, v14
	s_delay_alu instid0(VALU_DEP_4)
	v_add_f32_e32 v13, v22, v10
	v_add_f32_e32 v14, v30, v55
	v_sub_f32_e32 v70, v70, v72
	v_fmac_f32_e32 v30, -0.5, v12
	v_add_f32_e32 v12, v15, v89
	ds_store_2addr_b32 v96, v16, v13 offset1:100
	v_add_f32_e32 v13, v19, v26
	v_add_nc_u32_e32 v97, 0x200, v96
	v_sub_f32_e32 v16, v59, v64
	v_fmac_f32_e32 v54, -0.5, v12
	v_sub_f32_e32 v12, v19, v26
	v_fmac_f32_e32 v50, -0.5, v13
	v_sub_f32_e32 v13, v15, v89
	ds_store_2addr_b32 v97, v11, v9 offset0:72 offset1:172
	v_fmamk_f32 v9, v16, 0xbf5db3d7, v30
	v_fmamk_f32 v112, v12, 0x3f5db3d7, v54
	v_fmac_f32_e32 v54, 0xbf5db3d7, v12
	v_fmamk_f32 v113, v13, 0xbf5db3d7, v50
	v_dual_fmac_f32 v50, 0x3f5db3d7, v13 :: v_dual_add_f32 v13, v14, v63
	s_delay_alu instid0(VALU_DEP_3) | instskip(SKIP_3) | instid1(VALU_DEP_4)
	v_dual_mul_f32 v11, 0xbf5db3d7, v112 :: v_dual_mul_f32 v14, 0xbf5db3d7, v54
	v_fmac_f32_e32 v30, 0x3f5db3d7, v16
	v_mul_u32_u24_e32 v15, 0x960, v27
	v_lshlrev_b32_e32 v16, 2, v33
	v_dual_add_f32 v12, v17, v26 :: v_dual_fmac_f32 v11, 0.5, v113
	v_fmac_f32_e32 v14, -0.5, v50
	v_fmamk_f32 v121, v70, 0x3f5db3d7, v84
	s_delay_alu instid0(VALU_DEP_4) | instskip(NEXT) | instid1(VALU_DEP_4)
	v_add3_u32 v114, 0, v15, v16
	v_add_f32_e32 v17, v13, v12
	v_sub_f32_e32 v12, v13, v12
	v_add_f32_e32 v13, v9, v11
	v_sub_f32_e32 v9, v9, v11
	v_add_f32_e32 v11, v30, v14
	v_fmac_f32_e32 v84, 0xbf5db3d7, v70
	v_dual_fmac_f32 v69, 0x3f5db3d7, v62 :: v_dual_add_f32 v62, v86, v77
	v_fmac_f32_e32 v86, -0.5, v120
	v_sub_f32_e32 v70, v76, v79
	v_dual_sub_f32 v10, v22, v10 :: v_dual_add_nc_u32 v115, 0x400, v96
	v_add_nc_u32_e32 v116, 0x200, v114
	v_sub_f32_e32 v14, v30, v14
	v_add_nc_u32_e32 v117, 0x400, v114
	v_fma_f32 v83, -0.5, v7, v83
	v_fmamk_f32 v76, v70, 0x3f5db3d7, v86
	v_fmac_f32_e32 v86, 0xbf5db3d7, v70
	v_add_f32_e32 v70, v66, v58
	ds_store_2addr_b32 v115, v10, v8 offset0:144 offset1:244
	ds_store_2addr_b32 v114, v17, v13 offset1:100
	ds_store_2addr_b32 v116, v11, v12 offset0:72 offset1:172
	ds_store_2addr_b32 v117, v9, v14 offset0:144 offset1:244
	global_wb scope:SCOPE_SE
	s_wait_dscnt 0x0
	s_barrier_signal -1
	s_barrier_wait -1
	global_inv scope:SCOPE_SE
	ds_load_2addr_b32 v[7:8], v0 offset1:120
	ds_load_2addr_b32 v[11:12], v37 offset0:88 offset1:208
	ds_load_b32 v68, v47 offset:1920
	ds_load_b32 v75, v0 offset:13920
	ds_load_2addr_b32 v[31:32], v39 offset0:56 offset1:176
	ds_load_2addr_b32 v[13:14], v36 offset0:8 offset1:128
	;; [unrolled: 1-line block ×12, first 2 shown]
	v_fmamk_f32 v119, v81, 0x3f5db3d7, v83
	v_add_f32_e32 v66, v85, v66
	v_fma_f32 v70, -0.5, v70, v85
	v_fmac_f32_e32 v83, 0xbf5db3d7, v81
	v_sub_f32_e32 v57, v57, v61
	v_mul_f32_e32 v81, 0.5, v106
	v_add_f32_e32 v58, v66, v58
	v_mul_f32_e32 v56, -0.5, v56
	v_add_f32_e32 v66, v99, v78
	s_delay_alu instid0(VALU_DEP_4) | instskip(SKIP_1) | instid1(VALU_DEP_4)
	v_dual_fmamk_f32 v78, v57, 0x3f5db3d7, v70 :: v_dual_fmac_f32 v81, 0x3f5db3d7, v107
	v_fmac_f32_e32 v70, 0xbf5db3d7, v57
	v_fmac_f32_e32 v56, 0x3f5db3d7, v52
	s_delay_alu instid0(VALU_DEP_4)
	v_add_f32_e32 v52, v58, v66
	v_sub_f32_e32 v57, v58, v66
	v_add_f32_e32 v58, v78, v81
	v_dual_sub_f32 v66, v78, v81 :: v_dual_mul_f32 v81, 0.5, v100
	v_add_f32_e32 v72, v110, v95
	v_add_f32_e32 v118, v119, v82
	;; [unrolled: 1-line block ×3, first 2 shown]
	v_sub_f32_e32 v56, v70, v56
	v_add_f32_e32 v70, v59, v64
	v_dual_add_f32 v62, v62, v65 :: v_dual_fmac_f32 v81, 0x3f5db3d7, v102
	v_add_f32_e32 v59, v87, v59
	v_add_f32_e32 v65, v98, v88
	global_wb scope:SCOPE_SE
	s_wait_dscnt 0x0
	s_barrier_signal -1
	s_barrier_wait -1
	global_inv scope:SCOPE_SE
	ds_store_2addr_b32 v101, v72, v118 offset1:100
	v_fmac_f32_e32 v87, -0.5, v70
	v_sub_f32_e32 v55, v55, v63
	v_add_f32_e32 v63, v62, v65
	v_sub_f32_e32 v62, v62, v65
	v_add_f32_e32 v65, v76, v81
	v_sub_f32_e32 v70, v76, v81
	v_mul_f32_e32 v76, 0.5, v112
	v_dual_add_f32 v59, v59, v64 :: v_dual_mul_f32 v72, -0.5, v74
	v_mul_f32_e32 v54, -0.5, v54
	v_fmac_f32_e32 v51, 0x3f5db3d7, v94
	v_dual_sub_f32 v77, v110, v95 :: v_dual_add_f32 v80, v83, v53
	s_delay_alu instid0(VALU_DEP_4)
	v_fmac_f32_e32 v72, 0x3f5db3d7, v71
	v_add_f32_e32 v64, v111, v89
	v_fmamk_f32 v81, v55, 0x3f5db3d7, v87
	v_fmac_f32_e32 v87, 0xbf5db3d7, v55
	v_fmac_f32_e32 v76, 0x3f5db3d7, v113
	;; [unrolled: 1-line block ×3, first 2 shown]
	v_sub_f32_e32 v79, v119, v82
	v_sub_f32_e32 v53, v83, v53
	v_add_f32_e32 v61, v60, v73
	v_dual_sub_f32 v60, v60, v73 :: v_dual_add_f32 v73, v121, v51
	v_add_f32_e32 v74, v84, v69
	v_sub_f32_e32 v69, v84, v69
	v_sub_f32_e32 v51, v121, v51
	v_add_f32_e32 v71, v86, v72
	v_sub_f32_e32 v72, v86, v72
	v_add_f32_e32 v50, v59, v64
	;; [unrolled: 2-line block ×4, first 2 shown]
	v_sub_f32_e32 v54, v87, v54
	ds_store_2addr_b32 v103, v80, v77 offset0:72 offset1:172
	ds_store_2addr_b32 v92, v79, v53 offset0:144 offset1:244
	ds_store_2addr_b32 v104, v61, v73 offset1:100
	ds_store_2addr_b32 v90, v74, v60 offset0:72 offset1:172
	ds_store_2addr_b32 v105, v51, v69 offset0:144 offset1:244
	ds_store_2addr_b32 v5, v52, v58 offset1:100
	ds_store_2addr_b32 v108, v78, v57 offset0:72 offset1:172
	ds_store_2addr_b32 v109, v66, v56 offset0:144 offset1:244
	ds_store_2addr_b32 v96, v63, v65 offset1:100
	ds_store_2addr_b32 v97, v71, v62 offset0:72 offset1:172
	ds_store_2addr_b32 v115, v70, v72 offset0:144 offset1:244
	ds_store_2addr_b32 v114, v50, v59 offset1:100
	ds_store_2addr_b32 v116, v76, v55 offset0:72 offset1:172
	ds_store_2addr_b32 v117, v64, v54 offset0:144 offset1:244
	global_wb scope:SCOPE_SE
	s_wait_dscnt 0x0
	s_barrier_signal -1
	s_barrier_wait -1
	global_inv scope:SCOPE_SE
	s_and_saveexec_b32 s0, vcc_lo
	s_cbranch_execz .LBB0_15
; %bb.14:
	v_mul_u32_u24_e32 v5, 5, v49
	v_mul_u32_u24_e32 v58, 5, v67
	v_mul_lo_u32 v118, s2, v4
	s_delay_alu instid0(VALU_DEP_3)
	v_lshlrev_b32_e32 v5, 3, v5
	s_clause 0x1
	global_load_b128 v[50:53], v5, s[8:9] offset:4720
	global_load_b128 v[54:57], v5, s[8:9] offset:4736
	v_lshlrev_b32_e32 v66, 3, v58
	s_clause 0x3
	global_load_b64 v[73:74], v5, s[8:9] offset:4752
	global_load_b128 v[58:61], v66, s[8:9] offset:4720
	global_load_b128 v[62:65], v66, s[8:9] offset:4736
	global_load_b64 v[96:97], v66, s[8:9] offset:4752
	v_mad_u32_u24 v5, v49, 5, 0xfffffda8
	v_mul_lo_u32 v66, s3, v3
	s_delay_alu instid0(VALU_DEP_2) | instskip(SKIP_1) | instid1(VALU_DEP_2)
	v_lshlrev_b64_e32 v[69:70], 3, v[5:6]
	v_mad_u32_u24 v5, v49, 5, 0xfffffb50
	v_add_co_u32 v80, vcc_lo, s8, v69
	s_wait_alu 0xfffd
	s_delay_alu instid0(VALU_DEP_3)
	v_add_co_ci_u32_e32 v81, vcc_lo, s9, v70, vcc_lo
	s_clause 0x2
	global_load_b128 v[69:72], v[80:81], off offset:4720
	global_load_b128 v[76:79], v[80:81], off offset:4736
	global_load_b64 v[98:99], v[80:81], off offset:4752
	v_lshlrev_b64_e32 v[80:81], 3, v[5:6]
	v_mad_u32_u24 v5, v49, 5, 0xfffff8f8
	s_delay_alu instid0(VALU_DEP_2) | instskip(SKIP_1) | instid1(VALU_DEP_3)
	v_add_co_u32 v88, vcc_lo, s8, v80
	s_wait_alu 0xfffd
	v_add_co_ci_u32_e32 v89, vcc_lo, s9, v81, vcc_lo
	s_clause 0x2
	global_load_b128 v[80:83], v[88:89], off offset:4720
	global_load_b128 v[84:87], v[88:89], off offset:4736
	global_load_b64 v[100:101], v[88:89], off offset:4752
	v_lshlrev_b64_e32 v[88:89], 3, v[5:6]
	s_delay_alu instid0(VALU_DEP_1) | instskip(SKIP_1) | instid1(VALU_DEP_2)
	v_add_co_u32 v102, vcc_lo, s8, v88
	s_wait_alu 0xfffd
	v_add_co_ci_u32_e32 v103, vcc_lo, s9, v89, vcc_lo
	s_clause 0x2
	global_load_b128 v[88:91], v[102:103], off offset:4720
	global_load_b128 v[92:95], v[102:103], off offset:4736
	global_load_b64 v[102:103], v[102:103], off offset:4752
	ds_load_2addr_b32 v[4:5], v46 offset0:24 offset1:144
	ds_load_2addr_b32 v[48:49], v48 offset0:72 offset1:192
	ds_load_2addr_b32 v[104:105], v39 offset0:56 offset1:176
	ds_load_2addr_b32 v[106:107], v42 offset0:104 offset1:224
	ds_load_b32 v119, v47 offset:1920
	ds_load_b32 v120, v0 offset:13920
	ds_load_2addr_b32 v[108:109], v35 offset0:112 offset1:232
	ds_load_2addr_b32 v[42:43], v43 offset0:72 offset1:192
	;; [unrolled: 1-line block ×9, first 2 shown]
	ds_load_2addr_b32 v[116:117], v0 offset1:120
	v_mad_co_u64_u32 v[46:47], null, s2, v3, 0
	s_delay_alu instid0(VALU_DEP_1) | instskip(NEXT) | instid1(VALU_DEP_1)
	v_add3_u32 v47, v47, v118, v66
	v_lshlrev_b64_e32 v[46:47], 3, v[46:47]
	s_delay_alu instid0(VALU_DEP_1) | instskip(SKIP_1) | instid1(VALU_DEP_2)
	v_add_co_u32 v46, vcc_lo, s6, v46
	s_wait_alu 0xfffd
	v_add_co_ci_u32_e32 v47, vcc_lo, s7, v47, vcc_lo
	s_wait_loadcnt 0xe
	v_mul_f32_e32 v0, v28, v53
	s_wait_loadcnt 0xd
	v_mul_f32_e32 v3, v30, v57
	s_wait_loadcnt_dscnt 0xc0a
	v_dual_mul_f32 v41, v5, v53 :: v_dual_mul_f32 v118, v74, v120
	v_dual_mul_f32 v53, v49, v57 :: v_dual_mul_f32 v74, v75, v74
	v_mul_f32_e32 v57, v51, v104
	v_dual_mul_f32 v66, v55, v106 :: v_dual_mul_f32 v55, v33, v55
	s_wait_loadcnt 0xa
	v_dual_mul_f32 v122, v34, v65 :: v_dual_mul_f32 v51, v31, v51
	s_wait_loadcnt_dscnt 0x902
	v_mul_f32_e32 v126, v97, v37
	v_dual_mul_f32 v121, v32, v61 :: v_dual_mul_f32 v124, v59, v114
	v_mul_f32_e32 v123, v105, v61
	v_dual_mul_f32 v65, v107, v65 :: v_dual_fmac_f32 v66, v33, v54
	v_mul_f32_e32 v125, v63, v35
	v_dual_mul_f32 v61, v13, v63 :: v_dual_fmac_f32 v118, v75, v73
	v_mul_f32_e32 v63, v15, v97
	v_fma_f32 v0, v52, v5, -v0
	v_fma_f32 v3, v56, v49, -v3
	v_fmac_f32_e32 v41, v28, v52
	v_fmac_f32_e32 v53, v30, v56
	;; [unrolled: 1-line block ×3, first 2 shown]
	v_fma_f32 v5, v54, v106, -v55
	s_wait_loadcnt 0x6
	v_mul_f32_e32 v54, v26, v99
	v_fma_f32 v28, v73, v120, -v74
	v_fma_f32 v30, v50, v104, -v51
	v_fma_f32 v31, v60, v105, -v121
	v_fma_f32 v33, v64, v107, -v122
	v_dual_fmac_f32 v124, v11, v58 :: v_dual_fmac_f32 v123, v32, v60
	v_mul_f32_e32 v32, v27, v72
	v_mul_f32_e32 v50, v77, v111
	v_dual_mul_f32 v52, v24, v77 :: v_dual_fmac_f32 v125, v13, v62
	v_fmac_f32_e32 v126, v15, v96
	v_add_f32_e32 v56, v0, v3
	v_mul_f32_e32 v59, v11, v59
	v_dual_fmac_f32 v65, v34, v64 :: v_dual_add_f32 v64, v41, v53
	v_fma_f32 v11, v62, v35, -v61
	v_mul_f32_e32 v34, v29, v79
	v_fma_f32 v13, v96, v37, -v63
	v_fma_f32 v15, v58, v114, -v59
	v_mul_f32_e32 v35, v4, v72
	v_mul_f32_e32 v37, v48, v79
	v_dual_mul_f32 v49, v70, v43 :: v_dual_sub_f32 v60, v5, v28
	v_mul_f32_e32 v51, v99, v45
	v_dual_mul_f32 v55, v22, v70 :: v_dual_add_f32 v70, v31, v33
	v_dual_add_f32 v61, v5, v28 :: v_dual_sub_f32 v74, v11, v13
	v_add_f32_e32 v75, v11, v13
	s_wait_dscnt 0x0
	v_add_f32_e32 v79, v116, v31
	v_fma_f32 v4, v71, v4, -v32
	v_sub_f32_e32 v97, v31, v33
	v_fma_f32 v31, v78, v48, -v34
	s_wait_loadcnt 0x4
	v_mul_f32_e32 v34, v40, v87
	v_sub_f32_e32 v58, v41, v53
	v_sub_f32_e32 v62, v66, v118
	v_dual_add_f32 v59, v66, v118 :: v_dual_sub_f32 v72, v123, v65
	v_dual_add_f32 v63, v119, v0 :: v_dual_mul_f32 v32, v113, v83
	v_dual_add_f32 v5, v30, v5 :: v_dual_fmac_f32 v50, v24, v76
	v_sub_f32_e32 v0, v0, v3
	s_wait_loadcnt 0x3
	v_dual_add_f32 v41, v68, v41 :: v_dual_mul_f32 v48, v101, v44
	v_add_f32_e32 v66, v57, v66
	v_dual_add_f32 v73, v125, v126 :: v_dual_add_f32 v96, v123, v65
	v_sub_f32_e32 v77, v125, v126
	v_dual_fmac_f32 v49, v22, v69 :: v_dual_fmac_f32 v34, v20, v86
	v_fmac_f32_e32 v35, v27, v71
	v_fmac_f32_e32 v51, v26, v98
	v_fma_f32 v22, v76, v111, -v52
	v_fma_f32 v24, v98, v45, -v54
	;; [unrolled: 1-line block ×3, first 2 shown]
	v_add_f32_e32 v11, v15, v11
	v_dual_mul_f32 v27, v18, v83 :: v_dual_fmac_f32 v48, v25, v100
	v_mul_f32_e32 v43, v81, v42
	v_dual_mul_f32 v45, v85, v110 :: v_dual_mul_f32 v52, v23, v85
	v_mul_f32_e32 v54, v25, v101
	v_fmac_f32_e32 v37, v29, v78
	v_dual_mul_f32 v29, v20, v87 :: v_dual_fmac_f32 v32, v18, v82
	v_mul_f32_e32 v55, v21, v81
	v_fma_f32 v56, -0.5, v56, v119
	v_fma_f32 v30, -0.5, v61, v30
	;; [unrolled: 1-line block ×3, first 2 shown]
	v_add_f32_e32 v59, v63, v3
	s_wait_loadcnt 0x0
	v_dual_add_f32 v5, v5, v28 :: v_dual_mul_f32 v78, v103, v38
	v_fma_f32 v28, -0.5, v64, v68
	v_add_f32_e32 v41, v41, v53
	v_add_f32_e32 v53, v66, v118
	v_fma_f32 v64, -0.5, v70, v116
	v_fma_f32 v61, -0.5, v73, v124
	;; [unrolled: 1-line block ×3, first 2 shown]
	v_add_f32_e32 v66, v79, v33
	v_fma_f32 v70, -0.5, v96, v7
	v_sub_f32_e32 v63, v22, v24
	v_dual_add_f32 v73, v109, v4 :: v_dual_sub_f32 v76, v4, v31
	v_fma_f32 v27, v82, v113, -v27
	v_fma_f32 v29, v86, v40, -v29
	v_fmac_f32_e32 v45, v23, v84
	v_fma_f32 v18, v84, v110, -v52
	v_fma_f32 v23, v100, v44, -v54
	v_mul_f32_e32 v40, v17, v91
	v_mul_f32_e32 v52, v39, v95
	v_fma_f32 v25, v80, v42, -v55
	v_dual_mul_f32 v42, v19, v95 :: v_dual_fmac_f32 v43, v21, v80
	v_mul_f32_e32 v80, v16, v103
	v_fmamk_f32 v82, v58, 0xbf5db3d7, v56
	v_add_f32_e32 v69, v22, v24
	v_add_f32_e32 v22, v26, v22
	v_dual_add_f32 v68, v11, v13 :: v_dual_add_f32 v11, v4, v31
	v_fmamk_f32 v84, v62, 0xbf5db3d7, v30
	v_dual_add_f32 v33, v50, v51 :: v_dual_fmac_f32 v56, 0x3f5db3d7, v58
	v_dual_sub_f32 v71, v50, v51 :: v_dual_fmamk_f32 v58, v0, 0x3f5db3d7, v28
	v_dual_add_f32 v50, v49, v50 :: v_dual_sub_f32 v13, v35, v37
	v_dual_mul_f32 v54, v89, v115 :: v_dual_add_f32 v75, v35, v37
	v_dual_fmac_f32 v28, 0xbf5db3d7, v0 :: v_dual_add_f32 v35, v10, v35
	v_add_f32_e32 v20, v41, v53
	v_fmac_f32_e32 v30, 0x3f5db3d7, v62
	v_dual_mul_f32 v44, v112, v91 :: v_dual_mul_f32 v55, v93, v36
	v_mul_f32_e32 v79, v14, v93
	v_dual_fmamk_f32 v83, v60, 0x3f5db3d7, v57 :: v_dual_add_f32 v22, v22, v24
	v_dual_fmac_f32 v57, 0xbf5db3d7, v60 :: v_dual_sub_f32 v4, v59, v5
	v_dual_sub_f32 v3, v41, v53 :: v_dual_add_f32 v62, v108, v27
	v_dual_add_f32 v21, v59, v5 :: v_dual_fmamk_f32 v0, v72, 0xbf5db3d7, v64
	v_mul_f32_e32 v81, v12, v89
	v_fmamk_f32 v5, v74, 0x3f5db3d7, v61
	v_dual_fmamk_f32 v41, v77, 0xbf5db3d7, v15 :: v_dual_fmac_f32 v52, v19, v94
	v_dual_fmac_f32 v64, 0x3f5db3d7, v72 :: v_dual_fmac_f32 v15, 0x3f5db3d7, v77
	v_fmac_f32_e32 v44, v17, v90
	v_fmamk_f32 v60, v97, 0x3f5db3d7, v70
	v_fma_f32 v53, -0.5, v11, v109
	v_fma_f32 v33, -0.5, v33, v49
	;; [unrolled: 1-line block ×3, first 2 shown]
	v_add_f32_e32 v26, v73, v31
	v_fma_f32 v49, -0.5, v75, v10
	v_add_f32_e32 v10, v35, v37
	v_dual_add_f32 v24, v50, v51 :: v_dual_add_f32 v31, v27, v29
	v_fmac_f32_e32 v78, v16, v102
	v_sub_f32_e32 v35, v32, v34
	v_add_f32_e32 v37, v45, v48
	v_add_f32_e32 v51, v18, v23
	v_dual_sub_f32 v59, v45, v48 :: v_dual_add_f32 v72, v32, v34
	v_dual_add_f32 v32, v9, v32 :: v_dual_add_f32 v45, v43, v45
	v_fma_f32 v40, v90, v112, -v40
	v_fma_f32 v39, v94, v39, -v42
	v_dual_mul_f32 v42, 0.5, v30 :: v_dual_mul_f32 v73, 0xbf5db3d7, v84
	v_mul_f32_e32 v30, 0xbf5db3d7, v30
	v_dual_fmac_f32 v61, 0xbf5db3d7, v74 :: v_dual_fmac_f32 v54, v12, v88
	v_dual_sub_f32 v50, v18, v23 :: v_dual_add_f32 v69, v25, v18
	v_dual_sub_f32 v27, v27, v29 :: v_dual_sub_f32 v16, v10, v24
	v_fmac_f32_e32 v55, v14, v92
	v_fma_f32 v12, v92, v36, -v79
	v_fma_f32 v14, v102, v38, -v80
	;; [unrolled: 1-line block ×3, first 2 shown]
	v_dual_mul_f32 v38, -0.5, v84 :: v_dual_mul_f32 v75, 0.5, v15
	v_fmamk_f32 v80, v63, 0x3f5db3d7, v33
	v_dual_fmac_f32 v33, 0xbf5db3d7, v63 :: v_dual_fmac_f32 v30, 0.5, v57
	s_delay_alu instid0(VALU_DEP_3)
	v_dual_sub_f32 v17, v26, v22 :: v_dual_fmac_f32 v38, 0x3f5db3d7, v83
	v_add_f32_e32 v19, v26, v22
	v_add_f32_e32 v18, v10, v24
	v_fma_f32 v26, -0.5, v31, v108
	v_fma_f32 v31, -0.5, v51, v25
	v_add_f32_e32 v10, v62, v29
	v_fma_f32 v62, -0.5, v72, v9
	v_dual_add_f32 v9, v32, v34 :: v_dual_add_f32 v24, v45, v48
	v_add_f32_e32 v29, v40, v39
	v_fmac_f32_e32 v73, -0.5, v83
	v_dual_add_f32 v51, v117, v40 :: v_dual_sub_f32 v40, v40, v39
	v_dual_mul_f32 v79, 0xbf5db3d7, v15 :: v_dual_add_f32 v34, v55, v78
	v_fmamk_f32 v15, v71, 0xbf5db3d7, v11
	v_dual_fmac_f32 v11, 0x3f5db3d7, v71 :: v_dual_fmac_f32 v42, 0x3f5db3d7, v57
	v_mul_f32_e32 v74, -0.5, v41
	v_dual_mul_f32 v77, 0xbf5db3d7, v41 :: v_dual_sub_f32 v32, v44, v52
	v_dual_fmamk_f32 v41, v13, 0xbf5db3d7, v53 :: v_dual_sub_f32 v48, v55, v78
	v_fmac_f32_e32 v53, 0x3f5db3d7, v13
	s_delay_alu instid0(VALU_DEP_4)
	v_dual_fmamk_f32 v63, v76, 0x3f5db3d7, v49 :: v_dual_fmac_f32 v74, 0x3f5db3d7, v5
	v_dual_fmac_f32 v49, 0xbf5db3d7, v76 :: v_dual_mul_f32 v72, 0xbf5db3d7, v11
	v_fma_f32 v43, -0.5, v37, v43
	v_add_f32_e32 v13, v69, v23
	v_dual_add_f32 v69, v44, v52 :: v_dual_fmamk_f32 v76, v35, 0xbf5db3d7, v26
	v_dual_fmac_f32 v26, 0x3f5db3d7, v35 :: v_dual_add_f32 v45, v12, v14
	v_sub_f32_e32 v37, v12, v14
	v_add_f32_e32 v12, v36, v12
	v_dual_add_f32 v44, v8, v44 :: v_dual_add_f32 v55, v54, v55
	v_dual_mul_f32 v57, 0.5, v11 :: v_dual_fmac_f32 v72, 0.5, v33
	v_sub_f32_e32 v22, v9, v24
	v_add_f32_e32 v24, v9, v24
	v_fma_f32 v54, -0.5, v34, v54
	v_fmamk_f32 v81, v50, 0x3f5db3d7, v43
	v_fmac_f32_e32 v43, 0xbf5db3d7, v50
	v_fmamk_f32 v50, v27, 0x3f5db3d7, v62
	v_dual_fmac_f32 v62, 0xbf5db3d7, v27 :: v_dual_fmamk_f32 v83, v59, 0xbf5db3d7, v31
	v_fmac_f32_e32 v31, 0x3f5db3d7, v59
	v_fma_f32 v59, -0.5, v29, v117
	v_mul_f32_e32 v71, 0xbf5db3d7, v15
	v_fma_f32 v45, -0.5, v45, v36
	v_fma_f32 v69, -0.5, v69, v8
	v_fmac_f32_e32 v77, -0.5, v5
	v_dual_sub_f32 v23, v10, v13 :: v_dual_add_f32 v36, v44, v52
	v_add_f32_e32 v25, v10, v13
	v_sub_f32_e32 v11, v56, v42
	v_dual_sub_f32 v10, v28, v30 :: v_dual_mul_f32 v5, -0.5, v15
	v_sub_f32_e32 v8, v58, v73
	v_add_f32_e32 v34, v51, v39
	v_add_f32_e32 v39, v55, v78
	;; [unrolled: 1-line block ×3, first 2 shown]
	v_fmamk_f32 v56, v32, 0xbf5db3d7, v59
	v_fmac_f32_e32 v71, -0.5, v80
	v_dual_add_f32 v35, v12, v14 :: v_dual_add_f32 v12, v58, v73
	v_fmamk_f32 v42, v48, 0xbf5db3d7, v45
	v_fmac_f32_e32 v79, 0.5, v61
	v_fmamk_f32 v73, v40, 0x3f5db3d7, v69
	v_fmac_f32_e32 v45, 0x3f5db3d7, v48
	v_dual_fmac_f32 v75, 0x3f5db3d7, v61 :: v_dual_add_f32 v14, v28, v30
	v_dual_sub_f32 v27, v0, v74 :: v_dual_fmamk_f32 v58, v37, 0x3f5db3d7, v54
	v_fmac_f32_e32 v59, 0x3f5db3d7, v32
	v_dual_fmac_f32 v54, 0xbf5db3d7, v37 :: v_dual_fmac_f32 v69, 0xbf5db3d7, v40
	v_dual_add_f32 v40, v49, v72 :: v_dual_sub_f32 v9, v82, v38
	v_add_f32_e32 v32, v36, v39
	v_sub_f32_e32 v30, v36, v39
	v_sub_f32_e32 v36, v49, v72
	v_mul_f32_e32 v72, 0xbf5db3d7, v45
	v_mul_f32_e32 v28, -0.5, v83
	v_dual_mul_f32 v52, 0xbf5db3d7, v83 :: v_dual_add_f32 v13, v82, v38
	v_fmac_f32_e32 v70, 0xbf5db3d7, v97
	s_delay_alu instid0(VALU_DEP_4) | instskip(NEXT) | instid1(VALU_DEP_4)
	v_fmac_f32_e32 v72, 0.5, v54
	v_fmac_f32_e32 v28, 0x3f5db3d7, v81
	v_mul_f32_e32 v55, 0xbf5db3d7, v31
	v_mul_f32_e32 v51, 0.5, v31
	v_sub_f32_e32 v31, v34, v35
	v_add_f32_e32 v38, v63, v71
	s_delay_alu instid0(VALU_DEP_4) | instskip(SKIP_4) | instid1(VALU_DEP_4)
	v_dual_fmac_f32 v52, -0.5, v81 :: v_dual_fmac_f32 v55, 0.5, v43
	v_fmac_f32_e32 v5, 0x3f5db3d7, v80
	v_fmac_f32_e32 v57, 0x3f5db3d7, v33
	v_add_f32_e32 v33, v34, v35
	v_dual_sub_f32 v34, v63, v71 :: v_dual_mul_f32 v71, 0xbf5db3d7, v42
	v_dual_sub_f32 v44, v62, v55 :: v_dual_sub_f32 v35, v41, v5
	v_add_f32_e32 v39, v41, v5
	v_mul_f32_e32 v5, -0.5, v42
	s_delay_alu instid0(VALU_DEP_4) | instskip(SKIP_2) | instid1(VALU_DEP_4)
	v_fmac_f32_e32 v71, -0.5, v58
	v_add_f32_e32 v7, v7, v123
	v_dual_sub_f32 v29, v64, v75 :: v_dual_sub_f32 v42, v50, v52
	v_dual_fmac_f32 v5, 0x3f5db3d7, v58 :: v_dual_add_f32 v48, v50, v52
	s_delay_alu instid0(VALU_DEP_4) | instskip(NEXT) | instid1(VALU_DEP_4)
	v_dual_sub_f32 v52, v73, v71 :: v_dual_mul_f32 v63, 0.5, v45
	v_add_f32_e32 v7, v7, v65
	v_sub_f32_e32 v37, v53, v57
	v_add_f32_e32 v41, v53, v57
	v_sub_f32_e32 v53, v56, v5
	v_add_f32_e32 v57, v56, v5
	v_mul_hi_u32 v5, 0x1b4e81b5, v67
	v_add_f32_e32 v49, v76, v28
	v_dual_fmac_f32 v63, 0x3f5db3d7, v54 :: v_dual_add_f32 v50, v62, v55
	v_dual_sub_f32 v54, v69, v72 :: v_dual_fmac_f32 v51, 0x3f5db3d7, v43
	v_add_f32_e32 v62, v124, v125
	v_dual_sub_f32 v43, v76, v28 :: v_dual_sub_f32 v28, v70, v79
	v_add_f32_e32 v56, v73, v71
	v_add_nc_u32_e32 v71, 0x78, v67
	v_lshrrev_b32_e32 v5, 6, v5
	v_add_f32_e32 v58, v69, v72
	v_dual_add_f32 v72, v62, v126 :: v_dual_sub_f32 v55, v59, v63
	s_delay_alu instid0(VALU_DEP_4)
	v_mul_hi_u32 v62, 0x1b4e81b5, v71
	v_add_f32_e32 v59, v59, v63
	v_add_f32_e32 v63, v0, v74
	v_mul_u32_u24_e32 v0, 0x258, v5
	v_sub_f32_e32 v61, v66, v68
	v_add_f32_e32 v69, v66, v68
	v_dual_add_f32 v68, v7, v72 :: v_dual_add_f32 v65, v64, v75
	s_delay_alu instid0(VALU_DEP_4) | instskip(SKIP_2) | instid1(VALU_DEP_3)
	v_sub_nc_u32_e32 v5, v67, v0
	v_lshlrev_b64_e32 v[0:1], 3, v[1:2]
	v_lshrrev_b32_e32 v2, 6, v62
	v_dual_add_f32 v64, v70, v79 :: v_dual_lshlrev_b32 v5, 3, v5
	s_delay_alu instid0(VALU_DEP_2) | instskip(NEXT) | instid1(VALU_DEP_4)
	v_mul_u32_u24_e32 v62, 0x258, v2
	v_add_co_u32 v66, vcc_lo, v46, v0
	s_wait_alu 0xfffd
	v_add_co_ci_u32_e32 v73, vcc_lo, v47, v1, vcc_lo
	s_delay_alu instid0(VALU_DEP_3) | instskip(NEXT) | instid1(VALU_DEP_3)
	v_sub_nc_u32_e32 v46, v71, v62
	v_add_co_u32 v0, vcc_lo, v66, v5
	v_add_f32_e32 v62, v60, v77
	s_wait_alu 0xfffd
	v_add_co_ci_u32_e32 v1, vcc_lo, 0, v73, vcc_lo
	v_mad_u32_u24 v5, 0xe10, v2, v46
	v_add_nc_u32_e32 v2, 0xf0, v67
	v_sub_f32_e32 v45, v26, v51
	v_dual_add_f32 v51, v26, v51 :: v_dual_sub_f32 v26, v60, v77
	v_sub_f32_e32 v60, v7, v72
	s_delay_alu instid0(VALU_DEP_4)
	v_mul_hi_u32 v7, 0x1b4e81b5, v2
	v_lshlrev_b64_e32 v[46:47], 3, v[5:6]
	s_clause 0x3
	global_store_b64 v[0:1], v[68:69], off
	global_store_b64 v[0:1], v[64:65], off offset:4800
	global_store_b64 v[0:1], v[62:63], off offset:9600
	;; [unrolled: 1-line block ×3, first 2 shown]
	v_add_nc_u32_e32 v60, 0x960, v5
	s_clause 0x1
	global_store_b64 v[0:1], v[28:29], off offset:19200
	global_store_b64 v[0:1], v[26:27], off offset:24000
	v_add_nc_u32_e32 v0, 0x258, v5
	v_add_nc_u32_e32 v28, 0x4b0, v5
	v_add_co_u32 v26, vcc_lo, v66, v46
	v_add_nc_u32_e32 v46, 0x708, v5
	v_add_nc_u32_e32 v5, 0xbb8, v5
	v_lshrrev_b32_e32 v7, 6, v7
	v_mov_b32_e32 v1, v6
	v_mov_b32_e32 v29, v6
	s_wait_alu 0xfffd
	v_add_co_ci_u32_e32 v27, vcc_lo, v73, v47, vcc_lo
	v_lshlrev_b64_e32 v[62:63], 3, v[5:6]
	v_mul_u32_u24_e32 v5, 0x258, v7
	v_lshlrev_b64_e32 v[0:1], 3, v[0:1]
	v_mov_b32_e32 v47, v6
	v_lshlrev_b64_e32 v[28:29], 3, v[28:29]
	v_mov_b32_e32 v61, v6
	v_sub_nc_u32_e32 v2, v2, v5
	v_add_co_u32 v0, vcc_lo, v66, v0
	v_lshlrev_b64_e32 v[46:47], 3, v[46:47]
	s_delay_alu instid0(VALU_DEP_3) | instskip(SKIP_4) | instid1(VALU_DEP_3)
	v_mad_u32_u24 v5, 0xe10, v7, v2
	v_add_nc_u32_e32 v2, 0x168, v67
	s_wait_alu 0xfffd
	v_add_co_ci_u32_e32 v1, vcc_lo, v73, v1, vcc_lo
	v_add_co_u32 v28, vcc_lo, v66, v28
	v_mul_hi_u32 v7, 0x1b4e81b5, v2
	s_wait_alu 0xfffd
	v_add_co_ci_u32_e32 v29, vcc_lo, v73, v29, vcc_lo
	v_add_co_u32 v46, vcc_lo, v66, v46
	s_wait_alu 0xfffd
	v_add_co_ci_u32_e32 v47, vcc_lo, v73, v47, vcc_lo
	v_lshlrev_b64_e32 v[60:61], 3, v[60:61]
	s_clause 0x3
	global_store_b64 v[26:27], v[32:33], off
	global_store_b64 v[0:1], v[58:59], off
	;; [unrolled: 1-line block ×4, first 2 shown]
	v_lshlrev_b64_e32 v[0:1], 3, v[5:6]
	v_add_nc_u32_e32 v26, 0x258, v5
	v_add_nc_u32_e32 v28, 0x4b0, v5
	;; [unrolled: 1-line block ×5, first 2 shown]
	v_lshrrev_b32_e32 v7, 6, v7
	v_mov_b32_e32 v27, v6
	v_add_co_u32 v60, vcc_lo, v66, v60
	s_delay_alu instid0(VALU_DEP_4) | instskip(NEXT) | instid1(VALU_DEP_4)
	v_lshlrev_b64_e32 v[46:47], 3, v[5:6]
	v_mul_u32_u24_e32 v5, 0x258, v7
	v_mov_b32_e32 v29, v6
	s_wait_alu 0xfffd
	v_add_co_ci_u32_e32 v61, vcc_lo, v73, v61, vcc_lo
	v_add_co_u32 v62, vcc_lo, v66, v62
	v_lshlrev_b64_e32 v[26:27], 3, v[26:27]
	v_mov_b32_e32 v31, v6
	v_sub_nc_u32_e32 v2, v2, v5
	s_wait_alu 0xfffd
	v_add_co_ci_u32_e32 v63, vcc_lo, v73, v63, vcc_lo
	v_add_co_u32 v0, vcc_lo, v66, v0
	v_lshlrev_b64_e32 v[28:29], 3, v[28:29]
	v_mov_b32_e32 v33, v6
	s_wait_alu 0xfffd
	v_add_co_ci_u32_e32 v1, vcc_lo, v73, v1, vcc_lo
	v_add_co_u32 v26, vcc_lo, v66, v26
	v_lshlrev_b64_e32 v[30:31], 3, v[30:31]
	v_mad_u32_u24 v5, 0xe10, v7, v2
	v_add_nc_u32_e32 v2, 0x1e0, v67
	s_wait_alu 0xfffd
	v_add_co_ci_u32_e32 v27, vcc_lo, v73, v27, vcc_lo
	v_add_co_u32 v28, vcc_lo, v66, v28
	v_lshlrev_b64_e32 v[32:33], 3, v[32:33]
	s_wait_alu 0xfffd
	v_add_co_ci_u32_e32 v29, vcc_lo, v73, v29, vcc_lo
	v_mul_hi_u32 v7, 0x1b4e81b5, v2
	v_add_co_u32 v30, vcc_lo, v66, v30
	s_wait_alu 0xfffd
	v_add_co_ci_u32_e32 v31, vcc_lo, v73, v31, vcc_lo
	v_add_co_u32 v32, vcc_lo, v66, v32
	s_wait_alu 0xfffd
	v_add_co_ci_u32_e32 v33, vcc_lo, v73, v33, vcc_lo
	v_add_co_u32 v46, vcc_lo, v66, v46
	v_lshrrev_b32_e32 v7, 6, v7
	s_clause 0x1
	global_store_b64 v[60:61], v[54:55], off
	global_store_b64 v[62:63], v[52:53], off
	s_wait_alu 0xfffd
	v_add_co_ci_u32_e32 v47, vcc_lo, v73, v47, vcc_lo
	s_clause 0x3
	global_store_b64 v[0:1], v[24:25], off
	global_store_b64 v[26:27], v[50:51], off
	;; [unrolled: 1-line block ×4, first 2 shown]
	v_dual_mov_b32 v23, v6 :: v_dual_add_nc_u32 v22, 0x258, v5
	v_lshlrev_b64_e32 v[0:1], 3, v[5:6]
	v_dual_mov_b32 v25, v6 :: v_dual_add_nc_u32 v24, 0x4b0, v5
	s_clause 0x1
	global_store_b64 v[32:33], v[44:45], off
	global_store_b64 v[46:47], v[42:43], off
	v_mul_u32_u24_e32 v32, 0x258, v7
	v_lshlrev_b64_e32 v[22:23], 3, v[22:23]
	v_dual_mov_b32 v27, v6 :: v_dual_add_nc_u32 v26, 0x708, v5
	v_add_co_u32 v0, vcc_lo, v66, v0
	v_lshlrev_b64_e32 v[24:25], 3, v[24:25]
	v_add_nc_u32_e32 v28, 0x960, v5
	v_add_nc_u32_e32 v5, 0xbb8, v5
	v_sub_nc_u32_e32 v2, v2, v32
	s_wait_alu 0xfffd
	v_add_co_ci_u32_e32 v1, vcc_lo, v73, v1, vcc_lo
	v_mov_b32_e32 v29, v6
	v_add_co_u32 v22, vcc_lo, v66, v22
	v_lshlrev_b64_e32 v[26:27], 3, v[26:27]
	s_wait_alu 0xfffd
	v_add_co_ci_u32_e32 v23, vcc_lo, v73, v23, vcc_lo
	v_add_co_u32 v24, vcc_lo, v66, v24
	v_lshlrev_b64_e32 v[30:31], 3, v[5:6]
	v_mad_u32_u24 v5, 0xe10, v7, v2
	v_lshlrev_b64_e32 v[28:29], 3, v[28:29]
	s_wait_alu 0xfffd
	v_add_co_ci_u32_e32 v25, vcc_lo, v73, v25, vcc_lo
	v_add_co_u32 v26, vcc_lo, v66, v26
	s_wait_alu 0xfffd
	v_add_co_ci_u32_e32 v27, vcc_lo, v73, v27, vcc_lo
	v_dual_mov_b32 v33, v6 :: v_dual_add_nc_u32 v32, 0x258, v5
	v_add_co_u32 v28, vcc_lo, v66, v28
	s_clause 0x3
	global_store_b64 v[0:1], v[18:19], off
	global_store_b64 v[22:23], v[40:41], off
	;; [unrolled: 1-line block ×4, first 2 shown]
	v_add_nc_u32_e32 v24, 0x960, v5
	v_lshlrev_b64_e32 v[0:1], 3, v[5:6]
	v_dual_mov_b32 v19, v6 :: v_dual_add_nc_u32 v18, 0x4b0, v5
	s_wait_alu 0xfffd
	v_add_co_ci_u32_e32 v29, vcc_lo, v73, v29, vcc_lo
	v_add_co_u32 v30, vcc_lo, v66, v30
	v_lshlrev_b64_e32 v[16:17], 3, v[32:33]
	v_dual_mov_b32 v23, v6 :: v_dual_add_nc_u32 v22, 0x708, v5
	s_wait_alu 0xfffd
	v_add_co_ci_u32_e32 v31, vcc_lo, v73, v31, vcc_lo
	v_add_co_u32 v0, vcc_lo, v66, v0
	v_lshlrev_b64_e32 v[18:19], 3, v[18:19]
	v_mov_b32_e32 v25, v6
	s_wait_alu 0xfffd
	v_add_co_ci_u32_e32 v1, vcc_lo, v73, v1, vcc_lo
	v_add_co_u32 v16, vcc_lo, v66, v16
	v_lshlrev_b64_e32 v[22:23], 3, v[22:23]
	v_add_nc_u32_e32 v5, 0xbb8, v5
	s_wait_alu 0xfffd
	v_add_co_ci_u32_e32 v17, vcc_lo, v73, v17, vcc_lo
	v_add_co_u32 v18, vcc_lo, v66, v18
	v_lshlrev_b64_e32 v[24:25], 3, v[24:25]
	s_wait_alu 0xfffd
	v_add_co_ci_u32_e32 v19, vcc_lo, v73, v19, vcc_lo
	v_add_co_u32 v22, vcc_lo, v66, v22
	v_lshlrev_b64_e32 v[5:6], 3, v[5:6]
	s_wait_alu 0xfffd
	v_add_co_ci_u32_e32 v23, vcc_lo, v73, v23, vcc_lo
	v_add_co_u32 v24, vcc_lo, v66, v24
	s_wait_alu 0xfffd
	v_add_co_ci_u32_e32 v25, vcc_lo, v73, v25, vcc_lo
	v_add_co_u32 v5, vcc_lo, v66, v5
	s_clause 0x1
	global_store_b64 v[28:29], v[36:37], off
	global_store_b64 v[30:31], v[34:35], off
	s_wait_alu 0xfffd
	v_add_co_ci_u32_e32 v6, vcc_lo, v73, v6, vcc_lo
	s_clause 0x5
	global_store_b64 v[0:1], v[20:21], off
	global_store_b64 v[16:17], v[14:15], off
	;; [unrolled: 1-line block ×6, first 2 shown]
.LBB0_15:
	s_nop 0
	s_sendmsg sendmsg(MSG_DEALLOC_VGPRS)
	s_endpgm
	.section	.rodata,"a",@progbits
	.p2align	6, 0x0
	.amdhsa_kernel fft_rtc_back_len3600_factors_10_10_6_6_wgs_120_tpt_120_halfLds_sp_op_CI_CI_unitstride_sbrr_dirReg
		.amdhsa_group_segment_fixed_size 0
		.amdhsa_private_segment_fixed_size 0
		.amdhsa_kernarg_size 104
		.amdhsa_user_sgpr_count 2
		.amdhsa_user_sgpr_dispatch_ptr 0
		.amdhsa_user_sgpr_queue_ptr 0
		.amdhsa_user_sgpr_kernarg_segment_ptr 1
		.amdhsa_user_sgpr_dispatch_id 0
		.amdhsa_user_sgpr_private_segment_size 0
		.amdhsa_wavefront_size32 1
		.amdhsa_uses_dynamic_stack 0
		.amdhsa_enable_private_segment 0
		.amdhsa_system_sgpr_workgroup_id_x 1
		.amdhsa_system_sgpr_workgroup_id_y 0
		.amdhsa_system_sgpr_workgroup_id_z 0
		.amdhsa_system_sgpr_workgroup_info 0
		.amdhsa_system_vgpr_workitem_id 0
		.amdhsa_next_free_vgpr 131
		.amdhsa_next_free_sgpr 39
		.amdhsa_reserve_vcc 1
		.amdhsa_float_round_mode_32 0
		.amdhsa_float_round_mode_16_64 0
		.amdhsa_float_denorm_mode_32 3
		.amdhsa_float_denorm_mode_16_64 3
		.amdhsa_fp16_overflow 0
		.amdhsa_workgroup_processor_mode 1
		.amdhsa_memory_ordered 1
		.amdhsa_forward_progress 0
		.amdhsa_round_robin_scheduling 0
		.amdhsa_exception_fp_ieee_invalid_op 0
		.amdhsa_exception_fp_denorm_src 0
		.amdhsa_exception_fp_ieee_div_zero 0
		.amdhsa_exception_fp_ieee_overflow 0
		.amdhsa_exception_fp_ieee_underflow 0
		.amdhsa_exception_fp_ieee_inexact 0
		.amdhsa_exception_int_div_zero 0
	.end_amdhsa_kernel
	.text
.Lfunc_end0:
	.size	fft_rtc_back_len3600_factors_10_10_6_6_wgs_120_tpt_120_halfLds_sp_op_CI_CI_unitstride_sbrr_dirReg, .Lfunc_end0-fft_rtc_back_len3600_factors_10_10_6_6_wgs_120_tpt_120_halfLds_sp_op_CI_CI_unitstride_sbrr_dirReg
                                        ; -- End function
	.section	.AMDGPU.csdata,"",@progbits
; Kernel info:
; codeLenInByte = 16960
; NumSgprs: 41
; NumVgprs: 131
; ScratchSize: 0
; MemoryBound: 0
; FloatMode: 240
; IeeeMode: 1
; LDSByteSize: 0 bytes/workgroup (compile time only)
; SGPRBlocks: 5
; VGPRBlocks: 16
; NumSGPRsForWavesPerEU: 41
; NumVGPRsForWavesPerEU: 131
; Occupancy: 10
; WaveLimiterHint : 1
; COMPUTE_PGM_RSRC2:SCRATCH_EN: 0
; COMPUTE_PGM_RSRC2:USER_SGPR: 2
; COMPUTE_PGM_RSRC2:TRAP_HANDLER: 0
; COMPUTE_PGM_RSRC2:TGID_X_EN: 1
; COMPUTE_PGM_RSRC2:TGID_Y_EN: 0
; COMPUTE_PGM_RSRC2:TGID_Z_EN: 0
; COMPUTE_PGM_RSRC2:TIDIG_COMP_CNT: 0
	.text
	.p2alignl 7, 3214868480
	.fill 96, 4, 3214868480
	.type	__hip_cuid_c3063716e947893f,@object ; @__hip_cuid_c3063716e947893f
	.section	.bss,"aw",@nobits
	.globl	__hip_cuid_c3063716e947893f
__hip_cuid_c3063716e947893f:
	.byte	0                               ; 0x0
	.size	__hip_cuid_c3063716e947893f, 1

	.ident	"AMD clang version 19.0.0git (https://github.com/RadeonOpenCompute/llvm-project roc-6.4.0 25133 c7fe45cf4b819c5991fe208aaa96edf142730f1d)"
	.section	".note.GNU-stack","",@progbits
	.addrsig
	.addrsig_sym __hip_cuid_c3063716e947893f
	.amdgpu_metadata
---
amdhsa.kernels:
  - .args:
      - .actual_access:  read_only
        .address_space:  global
        .offset:         0
        .size:           8
        .value_kind:     global_buffer
      - .offset:         8
        .size:           8
        .value_kind:     by_value
      - .actual_access:  read_only
        .address_space:  global
        .offset:         16
        .size:           8
        .value_kind:     global_buffer
      - .actual_access:  read_only
        .address_space:  global
        .offset:         24
        .size:           8
        .value_kind:     global_buffer
      - .actual_access:  read_only
        .address_space:  global
        .offset:         32
        .size:           8
        .value_kind:     global_buffer
      - .offset:         40
        .size:           8
        .value_kind:     by_value
      - .actual_access:  read_only
        .address_space:  global
        .offset:         48
        .size:           8
        .value_kind:     global_buffer
      - .actual_access:  read_only
        .address_space:  global
        .offset:         56
        .size:           8
        .value_kind:     global_buffer
      - .offset:         64
        .size:           4
        .value_kind:     by_value
      - .actual_access:  read_only
        .address_space:  global
        .offset:         72
        .size:           8
        .value_kind:     global_buffer
      - .actual_access:  read_only
        .address_space:  global
        .offset:         80
        .size:           8
        .value_kind:     global_buffer
      - .actual_access:  read_only
        .address_space:  global
        .offset:         88
        .size:           8
        .value_kind:     global_buffer
      - .actual_access:  write_only
        .address_space:  global
        .offset:         96
        .size:           8
        .value_kind:     global_buffer
    .group_segment_fixed_size: 0
    .kernarg_segment_align: 8
    .kernarg_segment_size: 104
    .language:       OpenCL C
    .language_version:
      - 2
      - 0
    .max_flat_workgroup_size: 120
    .name:           fft_rtc_back_len3600_factors_10_10_6_6_wgs_120_tpt_120_halfLds_sp_op_CI_CI_unitstride_sbrr_dirReg
    .private_segment_fixed_size: 0
    .sgpr_count:     41
    .sgpr_spill_count: 0
    .symbol:         fft_rtc_back_len3600_factors_10_10_6_6_wgs_120_tpt_120_halfLds_sp_op_CI_CI_unitstride_sbrr_dirReg.kd
    .uniform_work_group_size: 1
    .uses_dynamic_stack: false
    .vgpr_count:     131
    .vgpr_spill_count: 0
    .wavefront_size: 32
    .workgroup_processor_mode: 1
amdhsa.target:   amdgcn-amd-amdhsa--gfx1201
amdhsa.version:
  - 1
  - 2
...

	.end_amdgpu_metadata
